;; amdgpu-corpus repo=ROCm/rocFFT kind=compiled arch=gfx1201 opt=O3
	.text
	.amdgcn_target "amdgcn-amd-amdhsa--gfx1201"
	.amdhsa_code_object_version 6
	.protected	fft_rtc_fwd_len884_factors_13_4_17_wgs_204_tpt_68_halfLds_sp_ip_CI_unitstride_sbrr_R2C_dirReg ; -- Begin function fft_rtc_fwd_len884_factors_13_4_17_wgs_204_tpt_68_halfLds_sp_ip_CI_unitstride_sbrr_R2C_dirReg
	.globl	fft_rtc_fwd_len884_factors_13_4_17_wgs_204_tpt_68_halfLds_sp_ip_CI_unitstride_sbrr_R2C_dirReg
	.p2align	8
	.type	fft_rtc_fwd_len884_factors_13_4_17_wgs_204_tpt_68_halfLds_sp_ip_CI_unitstride_sbrr_R2C_dirReg,@function
fft_rtc_fwd_len884_factors_13_4_17_wgs_204_tpt_68_halfLds_sp_ip_CI_unitstride_sbrr_R2C_dirReg: ; @fft_rtc_fwd_len884_factors_13_4_17_wgs_204_tpt_68_halfLds_sp_ip_CI_unitstride_sbrr_R2C_dirReg
; %bb.0:
	s_load_b128 s[4:7], s[0:1], 0x0
	v_mul_u32_u24_e32 v1, 0x3c4, v0
	s_clause 0x1
	s_load_b64 s[8:9], s[0:1], 0x50
	s_load_b64 s[10:11], s[0:1], 0x18
	v_mov_b32_e32 v5, 0
	v_lshrrev_b32_e32 v1, 16, v1
	s_delay_alu instid0(VALU_DEP_1) | instskip(SKIP_3) | instid1(VALU_DEP_1)
	v_mad_co_u64_u32 v[1:2], null, ttmp9, 3, v[1:2]
	v_mov_b32_e32 v3, 0
	v_mov_b32_e32 v4, 0
	;; [unrolled: 1-line block ×4, first 2 shown]
	s_wait_kmcnt 0x0
	v_cmp_lt_u64_e64 s2, s[6:7], 2
	v_mov_b32_e32 v9, v1
	s_delay_alu instid0(VALU_DEP_2)
	s_and_b32 vcc_lo, exec_lo, s2
	s_cbranch_vccnz .LBB0_8
; %bb.1:
	s_load_b64 s[2:3], s[0:1], 0x10
	v_dual_mov_b32 v3, 0 :: v_dual_mov_b32 v8, v2
	v_dual_mov_b32 v4, 0 :: v_dual_mov_b32 v7, v1
	s_add_nc_u64 s[12:13], s[10:11], 8
	s_mov_b64 s[14:15], 1
	s_wait_kmcnt 0x0
	s_add_nc_u64 s[16:17], s[2:3], 8
	s_mov_b32 s3, 0
.LBB0_2:                                ; =>This Inner Loop Header: Depth=1
	s_load_b64 s[18:19], s[16:17], 0x0
                                        ; implicit-def: $vgpr9_vgpr10
	s_mov_b32 s2, exec_lo
	s_wait_kmcnt 0x0
	v_or_b32_e32 v6, s19, v8
	s_delay_alu instid0(VALU_DEP_1)
	v_cmpx_ne_u64_e32 0, v[5:6]
	s_wait_alu 0xfffe
	s_xor_b32 s20, exec_lo, s2
	s_cbranch_execz .LBB0_4
; %bb.3:                                ;   in Loop: Header=BB0_2 Depth=1
	s_cvt_f32_u32 s2, s18
	s_cvt_f32_u32 s21, s19
	s_sub_nc_u64 s[24:25], 0, s[18:19]
	s_wait_alu 0xfffe
	s_delay_alu instid0(SALU_CYCLE_1) | instskip(SKIP_1) | instid1(SALU_CYCLE_2)
	s_fmamk_f32 s2, s21, 0x4f800000, s2
	s_wait_alu 0xfffe
	v_s_rcp_f32 s2, s2
	s_delay_alu instid0(TRANS32_DEP_1) | instskip(SKIP_1) | instid1(SALU_CYCLE_2)
	s_mul_f32 s2, s2, 0x5f7ffffc
	s_wait_alu 0xfffe
	s_mul_f32 s21, s2, 0x2f800000
	s_wait_alu 0xfffe
	s_delay_alu instid0(SALU_CYCLE_2) | instskip(SKIP_1) | instid1(SALU_CYCLE_2)
	s_trunc_f32 s21, s21
	s_wait_alu 0xfffe
	s_fmamk_f32 s2, s21, 0xcf800000, s2
	s_cvt_u32_f32 s23, s21
	s_wait_alu 0xfffe
	s_delay_alu instid0(SALU_CYCLE_1) | instskip(SKIP_1) | instid1(SALU_CYCLE_2)
	s_cvt_u32_f32 s22, s2
	s_wait_alu 0xfffe
	s_mul_u64 s[26:27], s[24:25], s[22:23]
	s_wait_alu 0xfffe
	s_mul_hi_u32 s29, s22, s27
	s_mul_i32 s28, s22, s27
	s_mul_hi_u32 s2, s22, s26
	s_mul_i32 s30, s23, s26
	s_wait_alu 0xfffe
	s_add_nc_u64 s[28:29], s[2:3], s[28:29]
	s_mul_hi_u32 s21, s23, s26
	s_mul_hi_u32 s31, s23, s27
	s_add_co_u32 s2, s28, s30
	s_wait_alu 0xfffe
	s_add_co_ci_u32 s2, s29, s21
	s_mul_i32 s26, s23, s27
	s_add_co_ci_u32 s27, s31, 0
	s_wait_alu 0xfffe
	s_add_nc_u64 s[26:27], s[2:3], s[26:27]
	s_wait_alu 0xfffe
	v_add_co_u32 v2, s2, s22, s26
	s_delay_alu instid0(VALU_DEP_1) | instskip(SKIP_1) | instid1(VALU_DEP_1)
	s_cmp_lg_u32 s2, 0
	s_add_co_ci_u32 s23, s23, s27
	v_readfirstlane_b32 s22, v2
	s_wait_alu 0xfffe
	s_delay_alu instid0(VALU_DEP_1)
	s_mul_u64 s[24:25], s[24:25], s[22:23]
	s_wait_alu 0xfffe
	s_mul_hi_u32 s27, s22, s25
	s_mul_i32 s26, s22, s25
	s_mul_hi_u32 s2, s22, s24
	s_mul_i32 s28, s23, s24
	s_wait_alu 0xfffe
	s_add_nc_u64 s[26:27], s[2:3], s[26:27]
	s_mul_hi_u32 s21, s23, s24
	s_mul_hi_u32 s22, s23, s25
	s_wait_alu 0xfffe
	s_add_co_u32 s2, s26, s28
	s_add_co_ci_u32 s2, s27, s21
	s_mul_i32 s24, s23, s25
	s_add_co_ci_u32 s25, s22, 0
	s_wait_alu 0xfffe
	s_add_nc_u64 s[24:25], s[2:3], s[24:25]
	s_wait_alu 0xfffe
	v_add_co_u32 v2, s2, v2, s24
	s_delay_alu instid0(VALU_DEP_1) | instskip(SKIP_1) | instid1(VALU_DEP_1)
	s_cmp_lg_u32 s2, 0
	s_add_co_ci_u32 s2, s23, s25
	v_mul_hi_u32 v6, v7, v2
	s_wait_alu 0xfffe
	v_mad_co_u64_u32 v[9:10], null, v7, s2, 0
	v_mad_co_u64_u32 v[11:12], null, v8, v2, 0
	;; [unrolled: 1-line block ×3, first 2 shown]
	s_delay_alu instid0(VALU_DEP_3) | instskip(SKIP_1) | instid1(VALU_DEP_4)
	v_add_co_u32 v2, vcc_lo, v6, v9
	s_wait_alu 0xfffd
	v_add_co_ci_u32_e32 v6, vcc_lo, 0, v10, vcc_lo
	s_delay_alu instid0(VALU_DEP_2) | instskip(SKIP_1) | instid1(VALU_DEP_2)
	v_add_co_u32 v2, vcc_lo, v2, v11
	s_wait_alu 0xfffd
	v_add_co_ci_u32_e32 v2, vcc_lo, v6, v12, vcc_lo
	s_wait_alu 0xfffd
	v_add_co_ci_u32_e32 v6, vcc_lo, 0, v14, vcc_lo
	s_delay_alu instid0(VALU_DEP_2) | instskip(SKIP_1) | instid1(VALU_DEP_2)
	v_add_co_u32 v2, vcc_lo, v2, v13
	s_wait_alu 0xfffd
	v_add_co_ci_u32_e32 v6, vcc_lo, 0, v6, vcc_lo
	s_delay_alu instid0(VALU_DEP_2) | instskip(SKIP_1) | instid1(VALU_DEP_3)
	v_mul_lo_u32 v11, s19, v2
	v_mad_co_u64_u32 v[9:10], null, s18, v2, 0
	v_mul_lo_u32 v12, s18, v6
	s_delay_alu instid0(VALU_DEP_2) | instskip(NEXT) | instid1(VALU_DEP_2)
	v_sub_co_u32 v9, vcc_lo, v7, v9
	v_add3_u32 v10, v10, v12, v11
	s_delay_alu instid0(VALU_DEP_1) | instskip(SKIP_1) | instid1(VALU_DEP_1)
	v_sub_nc_u32_e32 v11, v8, v10
	s_wait_alu 0xfffd
	v_subrev_co_ci_u32_e64 v11, s2, s19, v11, vcc_lo
	v_add_co_u32 v12, s2, v2, 2
	s_wait_alu 0xf1ff
	v_add_co_ci_u32_e64 v13, s2, 0, v6, s2
	v_sub_co_u32 v14, s2, v9, s18
	v_sub_co_ci_u32_e32 v10, vcc_lo, v8, v10, vcc_lo
	s_wait_alu 0xf1ff
	v_subrev_co_ci_u32_e64 v11, s2, 0, v11, s2
	s_delay_alu instid0(VALU_DEP_3) | instskip(NEXT) | instid1(VALU_DEP_3)
	v_cmp_le_u32_e32 vcc_lo, s18, v14
	v_cmp_eq_u32_e64 s2, s19, v10
	s_wait_alu 0xfffd
	v_cndmask_b32_e64 v14, 0, -1, vcc_lo
	v_cmp_le_u32_e32 vcc_lo, s19, v11
	s_wait_alu 0xfffd
	v_cndmask_b32_e64 v15, 0, -1, vcc_lo
	v_cmp_le_u32_e32 vcc_lo, s18, v9
	;; [unrolled: 3-line block ×3, first 2 shown]
	s_wait_alu 0xfffd
	v_cndmask_b32_e64 v16, 0, -1, vcc_lo
	v_cmp_eq_u32_e32 vcc_lo, s19, v11
	s_wait_alu 0xf1ff
	s_delay_alu instid0(VALU_DEP_2)
	v_cndmask_b32_e64 v9, v16, v9, s2
	s_wait_alu 0xfffd
	v_cndmask_b32_e32 v11, v15, v14, vcc_lo
	v_add_co_u32 v14, vcc_lo, v2, 1
	s_wait_alu 0xfffd
	v_add_co_ci_u32_e32 v15, vcc_lo, 0, v6, vcc_lo
	s_delay_alu instid0(VALU_DEP_3) | instskip(SKIP_1) | instid1(VALU_DEP_2)
	v_cmp_ne_u32_e32 vcc_lo, 0, v11
	s_wait_alu 0xfffd
	v_dual_cndmask_b32 v10, v15, v13 :: v_dual_cndmask_b32 v11, v14, v12
	v_cmp_ne_u32_e32 vcc_lo, 0, v9
	s_wait_alu 0xfffd
	s_delay_alu instid0(VALU_DEP_2) | instskip(NEXT) | instid1(VALU_DEP_3)
	v_cndmask_b32_e32 v10, v6, v10, vcc_lo
	v_cndmask_b32_e32 v9, v2, v11, vcc_lo
.LBB0_4:                                ;   in Loop: Header=BB0_2 Depth=1
	s_wait_alu 0xfffe
	s_and_not1_saveexec_b32 s2, s20
	s_cbranch_execz .LBB0_6
; %bb.5:                                ;   in Loop: Header=BB0_2 Depth=1
	v_cvt_f32_u32_e32 v2, s18
	s_sub_co_i32 s20, 0, s18
	s_delay_alu instid0(VALU_DEP_1) | instskip(NEXT) | instid1(TRANS32_DEP_1)
	v_rcp_iflag_f32_e32 v2, v2
	v_mul_f32_e32 v2, 0x4f7ffffe, v2
	s_delay_alu instid0(VALU_DEP_1) | instskip(SKIP_1) | instid1(VALU_DEP_1)
	v_cvt_u32_f32_e32 v2, v2
	s_wait_alu 0xfffe
	v_mul_lo_u32 v6, s20, v2
	s_delay_alu instid0(VALU_DEP_1) | instskip(NEXT) | instid1(VALU_DEP_1)
	v_mul_hi_u32 v6, v2, v6
	v_add_nc_u32_e32 v2, v2, v6
	s_delay_alu instid0(VALU_DEP_1) | instskip(NEXT) | instid1(VALU_DEP_1)
	v_mul_hi_u32 v2, v7, v2
	v_mul_lo_u32 v6, v2, s18
	v_add_nc_u32_e32 v9, 1, v2
	s_delay_alu instid0(VALU_DEP_2) | instskip(NEXT) | instid1(VALU_DEP_1)
	v_sub_nc_u32_e32 v6, v7, v6
	v_subrev_nc_u32_e32 v10, s18, v6
	v_cmp_le_u32_e32 vcc_lo, s18, v6
	s_wait_alu 0xfffd
	s_delay_alu instid0(VALU_DEP_2) | instskip(SKIP_2) | instid1(VALU_DEP_3)
	v_cndmask_b32_e32 v6, v6, v10, vcc_lo
	v_mov_b32_e32 v10, v5
	v_cndmask_b32_e32 v2, v2, v9, vcc_lo
	v_cmp_le_u32_e32 vcc_lo, s18, v6
	s_delay_alu instid0(VALU_DEP_2) | instskip(SKIP_1) | instid1(VALU_DEP_1)
	v_add_nc_u32_e32 v9, 1, v2
	s_wait_alu 0xfffd
	v_cndmask_b32_e32 v9, v2, v9, vcc_lo
.LBB0_6:                                ;   in Loop: Header=BB0_2 Depth=1
	s_wait_alu 0xfffe
	s_or_b32 exec_lo, exec_lo, s2
	s_load_b64 s[20:21], s[12:13], 0x0
	v_mul_lo_u32 v2, v10, s18
	v_mul_lo_u32 v6, v9, s19
	v_mad_co_u64_u32 v[11:12], null, v9, s18, 0
	s_add_nc_u64 s[14:15], s[14:15], 1
	s_add_nc_u64 s[12:13], s[12:13], 8
	s_wait_alu 0xfffe
	v_cmp_ge_u64_e64 s2, s[14:15], s[6:7]
	s_add_nc_u64 s[16:17], s[16:17], 8
	s_delay_alu instid0(VALU_DEP_2) | instskip(NEXT) | instid1(VALU_DEP_3)
	v_add3_u32 v2, v12, v6, v2
	v_sub_co_u32 v6, vcc_lo, v7, v11
	s_wait_alu 0xfffd
	s_delay_alu instid0(VALU_DEP_2) | instskip(SKIP_3) | instid1(VALU_DEP_2)
	v_sub_co_ci_u32_e32 v2, vcc_lo, v8, v2, vcc_lo
	s_and_b32 vcc_lo, exec_lo, s2
	s_wait_kmcnt 0x0
	v_mul_lo_u32 v7, s21, v6
	v_mul_lo_u32 v2, s20, v2
	v_mad_co_u64_u32 v[3:4], null, s20, v6, v[3:4]
	s_delay_alu instid0(VALU_DEP_1)
	v_add3_u32 v4, v7, v4, v2
	s_wait_alu 0xfffe
	s_cbranch_vccnz .LBB0_8
; %bb.7:                                ;   in Loop: Header=BB0_2 Depth=1
	v_dual_mov_b32 v7, v9 :: v_dual_mov_b32 v8, v10
	s_branch .LBB0_2
.LBB0_8:
	s_lshl_b64 s[2:3], s[6:7], 3
	v_mul_hi_u32 v2, 0xaaaaaaab, v1
	s_wait_alu 0xfffe
	s_add_nc_u64 s[2:3], s[10:11], s[2:3]
	v_mul_hi_u32 v5, 0x3c3c3c4, v0
	s_load_b64 s[2:3], s[2:3], 0x0
	s_load_b64 s[0:1], s[0:1], 0x20
	s_delay_alu instid0(VALU_DEP_2) | instskip(NEXT) | instid1(VALU_DEP_2)
	v_lshrrev_b32_e32 v2, 1, v2
	v_mul_u32_u24_e32 v5, 0x44, v5
	s_delay_alu instid0(VALU_DEP_2) | instskip(NEXT) | instid1(VALU_DEP_2)
	v_lshl_add_u32 v6, v2, 1, v2
	v_sub_nc_u32_e32 v32, v0, v5
	s_delay_alu instid0(VALU_DEP_2) | instskip(NEXT) | instid1(VALU_DEP_2)
	v_sub_nc_u32_e32 v0, v1, v6
	v_add_nc_u32_e32 v37, 0x44, v32
	v_add_nc_u32_e32 v39, 0x88, v32
	;; [unrolled: 1-line block ×3, first 2 shown]
	s_wait_kmcnt 0x0
	v_mul_lo_u32 v5, s2, v10
	v_mul_lo_u32 v7, s3, v9
	v_mad_co_u64_u32 v[2:3], null, s2, v9, v[3:4]
	v_cmp_gt_u64_e32 vcc_lo, s[0:1], v[9:10]
	v_cmp_le_u64_e64 s0, s[0:1], v[9:10]
	s_delay_alu instid0(VALU_DEP_3) | instskip(NEXT) | instid1(VALU_DEP_2)
	v_add3_u32 v3, v7, v3, v5
	s_and_saveexec_b32 s1, s0
	s_wait_alu 0xfffe
	s_xor_b32 s0, exec_lo, s1
; %bb.9:
	v_add_nc_u32_e32 v37, 0x44, v32
	v_add_nc_u32_e32 v39, 0x88, v32
	;; [unrolled: 1-line block ×3, first 2 shown]
; %bb.10:
	s_wait_alu 0xfffe
	s_or_saveexec_b32 s1, s0
	v_mul_u32_u24_e32 v0, 0x375, v0
	v_lshlrev_b64_e32 v[34:35], 3, v[2:3]
	v_lshlrev_b32_e32 v38, 3, v32
	s_delay_alu instid0(VALU_DEP_3)
	v_lshlrev_b32_e32 v46, 3, v0
	s_wait_alu 0xfffe
	s_xor_b32 exec_lo, exec_lo, s1
	s_cbranch_execz .LBB0_12
; %bb.11:
	s_delay_alu instid0(VALU_DEP_1)
	v_add3_u32 v26, 0, v46, v38
	v_mov_b32_e32 v33, 0
	v_add_co_u32 v2, s0, s8, v34
	s_wait_alu 0xf1ff
	v_add_co_ci_u32_e64 v3, s0, s9, v35, s0
	v_add_nc_u32_e32 v28, 0x1000, v26
	v_lshlrev_b64_e32 v[0:1], 3, v[32:33]
	v_add_nc_u32_e32 v27, 0x800, v26
	s_delay_alu instid0(VALU_DEP_2) | instskip(SKIP_1) | instid1(VALU_DEP_3)
	v_add_co_u32 v0, s0, v2, v0
	s_wait_alu 0xf1ff
	v_add_co_ci_u32_e64 v1, s0, v3, v1, s0
	s_clause 0xc
	global_load_b64 v[2:3], v[0:1], off
	global_load_b64 v[4:5], v[0:1], off offset:544
	global_load_b64 v[6:7], v[0:1], off offset:1088
	;; [unrolled: 1-line block ×12, first 2 shown]
	s_wait_loadcnt 0xb
	ds_store_2addr_b64 v26, v[2:3], v[4:5] offset1:68
	s_wait_loadcnt 0x9
	ds_store_2addr_b64 v26, v[6:7], v[8:9] offset0:136 offset1:204
	s_wait_loadcnt 0x7
	ds_store_2addr_b64 v27, v[10:11], v[12:13] offset0:16 offset1:84
	;; [unrolled: 2-line block ×5, first 2 shown]
	s_wait_loadcnt 0x0
	ds_store_b64 v26, v[0:1] offset:6528
.LBB0_12:
	s_or_b32 exec_lo, exec_lo, s1
	v_add_nc_u32_e32 v43, 0, v46
	v_add3_u32 v33, 0, v38, v46
	global_wb scope:SCOPE_SE
	s_wait_dscnt 0x0
	s_barrier_signal -1
	s_barrier_wait -1
	v_add_nc_u32_e32 v42, v43, v38
	v_add_nc_u32_e32 v0, 0x1400, v33
	global_inv scope:SCOPE_SE
	v_add_nc_u32_e32 v12, 0x1000, v33
	ds_load_2addr_b64 v[14:17], v33 offset0:68 offset1:136
	ds_load_b64 v[30:31], v42
	ds_load_2addr_b64 v[18:21], v0 offset0:108 offset1:176
	v_add_nc_u32_e32 v13, 0x400, v33
	v_add_nc_u32_e32 v11, 0x800, v33
	v_cmp_gt_u32_e64 s0, 17, v32
	s_wait_dscnt 0x1
	v_add_f32_e32 v8, v30, v14
	s_wait_dscnt 0x0
	v_dual_add_f32 v40, v20, v14 :: v_dual_add_f32 v9, v31, v15
	v_dual_sub_f32 v14, v14, v20 :: v_dual_sub_f32 v41, v15, v21
	s_delay_alu instid0(VALU_DEP_3) | instskip(NEXT) | instid1(VALU_DEP_2)
	v_dual_add_f32 v8, v8, v16 :: v_dual_add_f32 v15, v21, v15
	v_dual_add_f32 v9, v9, v17 :: v_dual_mul_f32 v48, 0xbf52af12, v14
	v_add_nc_u32_e32 v10, 0xc00, v33
	ds_load_2addr_b64 v[22:25], v13 offset0:76 offset1:144
	ds_load_2addr_b64 v[0:3], v11 offset0:84 offset1:152
	ds_load_2addr_b64 v[4:7], v10 offset0:92 offset1:160
	ds_load_2addr_b64 v[26:29], v12 offset0:100 offset1:168
	v_dual_mul_f32 v44, 0xbeedf032, v41 :: v_dual_mul_f32 v45, 0xbeedf032, v14
	v_mul_f32_e32 v47, 0xbf52af12, v41
	v_dual_mul_f32 v51, 0xbf6f5d39, v41 :: v_dual_mul_f32 v52, 0xbf6f5d39, v14
	s_delay_alu instid0(VALU_DEP_3) | instskip(SKIP_1) | instid1(VALU_DEP_3)
	v_fma_f32 v55, 0x3f62ad3f, v40, -v44
	v_dual_mul_f32 v53, 0xbf29c268, v41 :: v_dual_mul_f32 v54, 0xbf29c268, v14
	v_fma_f32 v61, 0xbeb58ec6, v40, -v51
	v_dual_mul_f32 v49, 0xbf7e222b, v41 :: v_dual_mul_f32 v50, 0xbf7e222b, v14
	v_mul_f32_e32 v14, 0xbe750f2a, v14
	s_delay_alu instid0(VALU_DEP_3) | instskip(NEXT) | instid1(VALU_DEP_3)
	v_dual_sub_f32 v64, v17, v19 :: v_dual_add_f32 v61, v30, v61
	v_fma_f32 v59, 0x3df6dbef, v40, -v49
	s_delay_alu instid0(VALU_DEP_4)
	v_dual_fmamk_f32 v60, v15, 0x3df6dbef, v50 :: v_dual_fmac_f32 v49, 0x3df6dbef, v40
	s_wait_dscnt 0x3
	v_dual_add_f32 v9, v9, v23 :: v_dual_fmamk_f32 v56, v15, 0x3f62ad3f, v45
	v_add_f32_e32 v8, v8, v22
	v_fma_f32 v45, 0x3f62ad3f, v15, -v45
	v_fma_f32 v57, 0x3f116cb1, v40, -v47
	s_delay_alu instid0(VALU_DEP_4) | instskip(SKIP_3) | instid1(VALU_DEP_3)
	v_dual_add_f32 v9, v9, v25 :: v_dual_fmac_f32 v44, 0x3f62ad3f, v40
	v_dual_fmamk_f32 v58, v15, 0x3f116cb1, v48 :: v_dual_fmac_f32 v47, 0x3f116cb1, v40
	v_fmamk_f32 v65, v15, 0xbf788fa5, v14
	s_wait_dscnt 0x2
	v_dual_add_f32 v9, v9, v1 :: v_dual_add_f32 v66, v18, v16
	v_fma_f32 v48, 0x3f116cb1, v15, -v48
	v_fma_f32 v50, 0x3df6dbef, v15, -v50
	v_dual_add_f32 v56, v31, v56 :: v_dual_add_f32 v57, v30, v57
	s_delay_alu instid0(VALU_DEP_4)
	v_dual_add_f32 v9, v9, v3 :: v_dual_add_f32 v8, v8, v24
	v_add_f32_e32 v55, v30, v55
	v_fma_f32 v14, 0xbf788fa5, v15, -v14
	v_dual_add_f32 v58, v31, v58 :: v_dual_add_f32 v59, v30, v59
	s_wait_dscnt 0x1
	v_dual_add_f32 v9, v9, v5 :: v_dual_add_f32 v8, v8, v0
	v_dual_fmac_f32 v51, 0xbeb58ec6, v40 :: v_dual_fmamk_f32 v62, v15, 0xbeb58ec6, v52
	v_add_f32_e32 v45, v31, v45
	s_delay_alu instid0(VALU_DEP_3) | instskip(SKIP_3) | instid1(VALU_DEP_3)
	v_dual_add_f32 v9, v9, v7 :: v_dual_add_f32 v8, v8, v2
	v_fma_f32 v52, 0xbeb58ec6, v15, -v52
	v_dual_add_f32 v48, v31, v48 :: v_dual_add_f32 v49, v30, v49
	s_wait_dscnt 0x0
	v_dual_add_f32 v9, v9, v27 :: v_dual_add_f32 v8, v8, v4
	v_add_f32_e32 v44, v30, v44
	v_dual_add_f32 v60, v31, v60 :: v_dual_add_f32 v47, v30, v47
	s_delay_alu instid0(VALU_DEP_3)
	v_dual_add_f32 v9, v9, v29 :: v_dual_add_f32 v8, v8, v6
	v_dual_add_f32 v50, v31, v50 :: v_dual_add_f32 v51, v30, v51
	global_wb scope:SCOPE_SE
	v_dual_add_f32 v9, v9, v19 :: v_dual_add_f32 v8, v8, v26
	s_barrier_signal -1
	s_barrier_wait -1
	global_inv scope:SCOPE_SE
	v_dual_add_f32 v9, v9, v21 :: v_dual_add_f32 v8, v8, v28
	v_fma_f32 v21, 0xbf3f9e67, v40, -v53
	v_dual_mul_f32 v41, 0xbe750f2a, v41 :: v_dual_sub_f32 v16, v16, v18
	s_delay_alu instid0(VALU_DEP_3) | instskip(NEXT) | instid1(VALU_DEP_3)
	v_dual_fmac_f32 v53, 0xbf3f9e67, v40 :: v_dual_add_f32 v8, v8, v18
	v_dual_add_f32 v52, v31, v52 :: v_dual_add_f32 v21, v30, v21
	v_mul_f32_e32 v67, 0xbf52af12, v64
	s_delay_alu instid0(VALU_DEP_3)
	v_dual_add_f32 v53, v30, v53 :: v_dual_add_f32 v8, v8, v20
	v_add_f32_e32 v20, v31, v62
	v_fmamk_f32 v62, v15, 0xbf3f9e67, v54
	v_fma_f32 v54, 0xbf3f9e67, v15, -v54
	v_fma_f32 v63, 0xbf788fa5, v40, -v41
	v_fmac_f32_e32 v41, 0xbf788fa5, v40
	v_add_f32_e32 v15, v19, v17
	v_add_f32_e32 v19, v31, v65
	v_add_f32_e32 v54, v31, v54
	v_fma_f32 v17, 0x3f116cb1, v66, -v67
	v_mul_f32_e32 v18, 0xbf52af12, v16
	v_mul_f32_e32 v40, 0xbf6f5d39, v64
	v_dual_add_f32 v62, v31, v62 :: v_dual_add_f32 v63, v30, v63
	s_delay_alu instid0(VALU_DEP_4) | instskip(NEXT) | instid1(VALU_DEP_4)
	v_dual_add_f32 v14, v31, v14 :: v_dual_add_f32 v17, v17, v55
	v_dual_add_f32 v30, v30, v41 :: v_dual_fmamk_f32 v31, v15, 0x3f116cb1, v18
	s_delay_alu instid0(VALU_DEP_4) | instskip(SKIP_3) | instid1(VALU_DEP_4)
	v_fma_f32 v55, 0xbeb58ec6, v66, -v40
	v_fma_f32 v18, 0x3f116cb1, v15, -v18
	v_mul_f32_e32 v41, 0xbf6f5d39, v16
	v_fmac_f32_e32 v67, 0x3f116cb1, v66
	v_add_f32_e32 v55, v55, v57
	s_delay_alu instid0(VALU_DEP_4) | instskip(SKIP_4) | instid1(VALU_DEP_4)
	v_dual_add_f32 v18, v18, v45 :: v_dual_add_f32 v31, v31, v56
	v_fmac_f32_e32 v40, 0xbeb58ec6, v66
	v_mul_f32_e32 v56, 0xbe750f2a, v64
	v_fmamk_f32 v45, v15, 0xbeb58ec6, v41
	v_fma_f32 v41, 0xbeb58ec6, v15, -v41
	v_add_f32_e32 v40, v40, v47
	s_delay_alu instid0(VALU_DEP_4) | instskip(SKIP_1) | instid1(VALU_DEP_4)
	v_fma_f32 v57, 0xbf788fa5, v66, -v56
	v_mul_f32_e32 v47, 0x3f29c268, v64
	v_add_f32_e32 v41, v41, v48
	v_dual_add_f32 v44, v67, v44 :: v_dual_add_f32 v45, v45, v58
	s_delay_alu instid0(VALU_DEP_4) | instskip(NEXT) | instid1(VALU_DEP_4)
	v_add_f32_e32 v48, v57, v59
	v_fma_f32 v59, 0xbf3f9e67, v66, -v47
	v_fmac_f32_e32 v47, 0xbf3f9e67, v66
	v_mul_f32_e32 v65, 0x3f29c268, v16
	s_delay_alu instid0(VALU_DEP_2) | instskip(NEXT) | instid1(VALU_DEP_1)
	v_dual_add_f32 v47, v47, v51 :: v_dual_fmac_f32 v56, 0xbf788fa5, v66
	v_dual_mul_f32 v58, 0xbe750f2a, v16 :: v_dual_add_f32 v49, v56, v49
	s_delay_alu instid0(VALU_DEP_1) | instskip(SKIP_3) | instid1(VALU_DEP_3)
	v_fmamk_f32 v57, v15, 0xbf788fa5, v58
	v_fma_f32 v58, 0xbf788fa5, v15, -v58
	v_dual_add_f32 v56, v59, v61 :: v_dual_mul_f32 v59, 0x3f7e222b, v64
	v_fma_f32 v61, 0xbf3f9e67, v15, -v65
	v_dual_add_f32 v50, v58, v50 :: v_dual_add_f32 v57, v57, v60
	v_fmamk_f32 v58, v15, 0xbf3f9e67, v65
	s_delay_alu instid0(VALU_DEP_3) | instskip(SKIP_1) | instid1(VALU_DEP_3)
	v_add_f32_e32 v52, v61, v52
	v_mul_f32_e32 v61, 0x3eedf032, v64
	v_add_f32_e32 v20, v58, v20
	v_fma_f32 v58, 0x3df6dbef, v66, -v59
	v_mul_f32_e32 v60, 0x3f7e222b, v16
	s_delay_alu instid0(VALU_DEP_2) | instskip(NEXT) | instid1(VALU_DEP_2)
	v_dual_mul_f32 v16, 0x3eedf032, v16 :: v_dual_add_f32 v21, v58, v21
	v_fma_f32 v58, 0x3df6dbef, v15, -v60
	v_fmamk_f32 v51, v15, 0x3df6dbef, v60
	v_fma_f32 v60, 0x3f62ad3f, v66, -v61
	s_delay_alu instid0(VALU_DEP_3) | instskip(SKIP_1) | instid1(VALU_DEP_4)
	v_add_f32_e32 v54, v58, v54
	v_fmac_f32_e32 v59, 0x3df6dbef, v66
	v_add_f32_e32 v51, v51, v62
	v_add_f32_e32 v62, v28, v22
	v_sub_f32_e32 v22, v22, v28
	s_delay_alu instid0(VALU_DEP_4) | instskip(SKIP_2) | instid1(VALU_DEP_4)
	v_dual_add_f32 v58, v60, v63 :: v_dual_add_f32 v53, v59, v53
	v_sub_f32_e32 v59, v23, v29
	v_dual_fmamk_f32 v60, v15, 0x3f62ad3f, v16 :: v_dual_fmac_f32 v61, 0x3f62ad3f, v66
	v_mul_f32_e32 v28, 0xbf7e222b, v22
	v_fma_f32 v15, 0x3f62ad3f, v15, -v16
	s_delay_alu instid0(VALU_DEP_4)
	v_mul_f32_e32 v63, 0xbf7e222b, v59
	v_add_f32_e32 v16, v29, v23
	v_add_f32_e32 v19, v60, v19
	v_mul_f32_e32 v60, 0x3f6f5d39, v59
	v_add_f32_e32 v14, v15, v14
	v_fma_f32 v23, 0x3df6dbef, v62, -v63
	v_fmac_f32_e32 v63, 0x3df6dbef, v62
	v_add_f32_e32 v29, v61, v30
	s_delay_alu instid0(VALU_DEP_3) | instskip(SKIP_2) | instid1(VALU_DEP_1)
	v_dual_mul_f32 v30, 0xbe750f2a, v22 :: v_dual_add_f32 v15, v23, v17
	v_fmamk_f32 v17, v16, 0x3df6dbef, v28
	v_fma_f32 v28, 0x3df6dbef, v16, -v28
	v_dual_mul_f32 v23, 0xbe750f2a, v59 :: v_dual_add_f32 v18, v28, v18
	s_delay_alu instid0(VALU_DEP_4) | instskip(SKIP_1) | instid1(VALU_DEP_1)
	v_fmamk_f32 v28, v16, 0xbf788fa5, v30
	v_fma_f32 v30, 0xbf788fa5, v16, -v30
	v_dual_add_f32 v30, v30, v41 :: v_dual_add_f32 v17, v17, v31
	s_delay_alu instid0(VALU_DEP_4) | instskip(SKIP_1) | instid1(VALU_DEP_2)
	v_fma_f32 v31, 0xbf788fa5, v62, -v23
	v_fmac_f32_e32 v23, 0xbf788fa5, v62
	v_dual_add_f32 v31, v31, v55 :: v_dual_add_f32 v28, v28, v45
	v_mul_f32_e32 v55, 0x3f6f5d39, v22
	v_fma_f32 v45, 0xbeb58ec6, v62, -v60
	s_delay_alu instid0(VALU_DEP_4) | instskip(SKIP_2) | instid1(VALU_DEP_4)
	v_dual_add_f32 v23, v23, v40 :: v_dual_mul_f32 v40, 0x3eedf032, v59
	v_fmac_f32_e32 v60, 0xbeb58ec6, v62
	v_add_f32_e32 v44, v63, v44
	v_add_f32_e32 v41, v45, v48
	v_fmamk_f32 v45, v16, 0xbeb58ec6, v55
	v_fma_f32 v48, 0xbeb58ec6, v16, -v55
	v_fma_f32 v55, 0x3f62ad3f, v62, -v40
	v_dual_add_f32 v49, v60, v49 :: v_dual_fmac_f32 v40, 0x3f62ad3f, v62
	v_mul_f32_e32 v61, 0x3eedf032, v22
	s_delay_alu instid0(VALU_DEP_4) | instskip(NEXT) | instid1(VALU_DEP_4)
	v_add_f32_e32 v48, v48, v50
	v_add_f32_e32 v50, v55, v56
	v_mul_f32_e32 v56, 0xbf52af12, v59
	v_add_f32_e32 v40, v40, v47
	v_fmamk_f32 v55, v16, 0x3f62ad3f, v61
	v_fma_f32 v60, 0x3f62ad3f, v16, -v61
	s_delay_alu instid0(VALU_DEP_2) | instskip(SKIP_1) | instid1(VALU_DEP_3)
	v_dual_mul_f32 v59, 0xbf29c268, v59 :: v_dual_add_f32 v20, v55, v20
	v_add_f32_e32 v45, v45, v57
	v_dual_mul_f32 v57, 0xbf52af12, v22 :: v_dual_add_f32 v52, v60, v52
	v_fma_f32 v55, 0x3f116cb1, v62, -v56
	v_fmac_f32_e32 v56, 0x3f116cb1, v62
	v_mul_f32_e32 v22, 0xbf29c268, v22
	s_delay_alu instid0(VALU_DEP_4) | instskip(NEXT) | instid1(VALU_DEP_3)
	v_fmamk_f32 v47, v16, 0x3f116cb1, v57
	v_dual_add_f32 v53, v56, v53 :: v_dual_sub_f32 v56, v25, v27
	v_add_f32_e32 v21, v55, v21
	s_delay_alu instid0(VALU_DEP_3) | instskip(SKIP_3) | instid1(VALU_DEP_3)
	v_add_f32_e32 v47, v47, v51
	v_fma_f32 v51, 0x3f116cb1, v16, -v57
	v_fma_f32 v55, 0xbf3f9e67, v62, -v59
	v_dual_add_f32 v57, v26, v24 :: v_dual_sub_f32 v24, v24, v26
	v_add_f32_e32 v51, v51, v54
	s_delay_alu instid0(VALU_DEP_3) | instskip(SKIP_3) | instid1(VALU_DEP_4)
	v_dual_add_f32 v54, v55, v58 :: v_dual_fmamk_f32 v55, v16, 0xbf3f9e67, v22
	v_mul_f32_e32 v58, 0xbf6f5d39, v56
	v_fma_f32 v16, 0xbf3f9e67, v16, -v22
	v_add_f32_e32 v22, v27, v25
	v_dual_mul_f32 v26, 0xbf6f5d39, v24 :: v_dual_add_f32 v19, v55, v19
	s_delay_alu instid0(VALU_DEP_3) | instskip(SKIP_1) | instid1(VALU_DEP_3)
	v_dual_mul_f32 v55, 0x3eedf032, v56 :: v_dual_add_f32 v14, v16, v14
	v_fma_f32 v25, 0xbeb58ec6, v57, -v58
	v_fmamk_f32 v16, v22, 0xbeb58ec6, v26
	v_fmac_f32_e32 v59, 0xbf3f9e67, v62
	v_fmac_f32_e32 v58, 0xbeb58ec6, v57
	v_fma_f32 v26, 0xbeb58ec6, v22, -v26
	v_add_f32_e32 v15, v25, v15
	v_dual_mul_f32 v25, 0x3f29c268, v56 :: v_dual_add_f32 v16, v16, v17
	s_delay_alu instid0(VALU_DEP_4) | instskip(NEXT) | instid1(VALU_DEP_4)
	v_dual_add_f32 v27, v59, v29 :: v_dual_add_f32 v44, v58, v44
	v_dual_mul_f32 v29, 0x3f29c268, v24 :: v_dual_add_f32 v18, v26, v18
	s_delay_alu instid0(VALU_DEP_3) | instskip(SKIP_1) | instid1(VALU_DEP_2)
	v_fma_f32 v17, 0xbf3f9e67, v57, -v25
	v_mul_f32_e32 v58, 0xbf7e222b, v24
	v_dual_fmamk_f32 v26, v22, 0xbf3f9e67, v29 :: v_dual_add_f32 v17, v17, v31
	s_delay_alu instid0(VALU_DEP_1) | instskip(SKIP_1) | instid1(VALU_DEP_1)
	v_dual_fmac_f32 v25, 0xbf3f9e67, v57 :: v_dual_add_f32 v26, v26, v28
	v_fma_f32 v28, 0x3f62ad3f, v57, -v55
	v_dual_add_f32 v23, v25, v23 :: v_dual_add_f32 v28, v28, v41
	v_fma_f32 v29, 0xbf3f9e67, v22, -v29
	s_delay_alu instid0(VALU_DEP_1) | instskip(SKIP_1) | instid1(VALU_DEP_1)
	v_add_f32_e32 v25, v29, v30
	v_mul_f32_e32 v29, 0xbf7e222b, v56
	v_fma_f32 v41, 0x3df6dbef, v57, -v29
	v_fmac_f32_e32 v29, 0x3df6dbef, v57
	s_delay_alu instid0(VALU_DEP_2) | instskip(NEXT) | instid1(VALU_DEP_1)
	v_dual_add_f32 v41, v41, v50 :: v_dual_mul_f32 v50, 0x3e750f2a, v24
	v_dual_add_f32 v29, v29, v40 :: v_dual_fmamk_f32 v40, v22, 0xbf788fa5, v50
	v_mul_f32_e32 v31, 0x3eedf032, v24
	v_mul_f32_e32 v24, 0x3f52af12, v24
	s_delay_alu instid0(VALU_DEP_3) | instskip(NEXT) | instid1(VALU_DEP_3)
	v_add_f32_e32 v40, v40, v47
	v_fmamk_f32 v30, v22, 0x3f62ad3f, v31
	v_fma_f32 v31, 0x3f62ad3f, v22, -v31
	v_fma_f32 v47, 0xbf788fa5, v22, -v50
	v_dual_sub_f32 v50, v1, v7 :: v_dual_add_f32 v1, v7, v1
	s_delay_alu instid0(VALU_DEP_3) | instskip(SKIP_1) | instid1(VALU_DEP_1)
	v_dual_add_f32 v30, v30, v45 :: v_dual_add_f32 v31, v31, v48
	v_fmamk_f32 v48, v22, 0x3df6dbef, v58
	v_dual_fmac_f32 v55, 0x3f62ad3f, v57 :: v_dual_add_f32 v20, v48, v20
	s_delay_alu instid0(VALU_DEP_1) | instskip(SKIP_2) | instid1(VALU_DEP_2)
	v_add_f32_e32 v45, v55, v49
	v_mul_f32_e32 v49, 0x3e750f2a, v56
	v_fma_f32 v55, 0x3df6dbef, v22, -v58
	v_fma_f32 v48, 0xbf788fa5, v57, -v49
	s_delay_alu instid0(VALU_DEP_2) | instskip(SKIP_1) | instid1(VALU_DEP_3)
	v_add_f32_e32 v52, v55, v52
	v_mul_f32_e32 v55, 0x3f52af12, v56
	v_add_f32_e32 v21, v48, v21
	s_delay_alu instid0(VALU_DEP_2) | instskip(NEXT) | instid1(VALU_DEP_1)
	v_fma_f32 v48, 0x3f116cb1, v57, -v55
	v_add_f32_e32 v48, v48, v54
	v_mul_f32_e32 v54, 0xbf29c268, v50
	v_fmac_f32_e32 v49, 0xbf788fa5, v57
	s_delay_alu instid0(VALU_DEP_1) | instskip(SKIP_4) | instid1(VALU_DEP_4)
	v_add_f32_e32 v49, v49, v53
	v_dual_add_f32 v53, v6, v0 :: v_dual_sub_f32 v0, v0, v6
	v_fma_f32 v6, 0x3f116cb1, v22, -v24
	v_add_f32_e32 v47, v47, v51
	v_fmamk_f32 v51, v22, 0x3f116cb1, v24
	v_mul_f32_e32 v22, 0xbf29c268, v0
	s_delay_alu instid0(VALU_DEP_4) | instskip(NEXT) | instid1(VALU_DEP_2)
	v_add_f32_e32 v6, v6, v14
	v_fmamk_f32 v14, v1, 0xbf3f9e67, v22
	v_fma_f32 v7, 0xbf3f9e67, v53, -v54
	v_fmac_f32_e32 v55, 0x3f116cb1, v57
	v_fmac_f32_e32 v54, 0xbf3f9e67, v53
	s_delay_alu instid0(VALU_DEP_3) | instskip(NEXT) | instid1(VALU_DEP_3)
	v_dual_add_f32 v14, v14, v16 :: v_dual_add_f32 v7, v7, v15
	v_dual_mul_f32 v15, 0x3f7e222b, v50 :: v_dual_add_f32 v24, v55, v27
	v_mul_f32_e32 v27, 0x3f7e222b, v0
	s_delay_alu instid0(VALU_DEP_4) | instskip(SKIP_1) | instid1(VALU_DEP_4)
	v_add_f32_e32 v44, v54, v44
	v_fma_f32 v22, 0xbf3f9e67, v1, -v22
	v_fma_f32 v16, 0x3df6dbef, v53, -v15
	v_mul_f32_e32 v54, 0x3e750f2a, v0
	s_delay_alu instid0(VALU_DEP_3) | instskip(NEXT) | instid1(VALU_DEP_3)
	v_add_f32_e32 v18, v22, v18
	v_dual_add_f32 v16, v16, v17 :: v_dual_add_f32 v19, v51, v19
	v_fmamk_f32 v22, v1, 0x3df6dbef, v27
	v_mul_f32_e32 v51, 0xbf52af12, v50
	s_delay_alu instid0(VALU_DEP_2) | instskip(SKIP_1) | instid1(VALU_DEP_3)
	v_add_f32_e32 v22, v22, v26
	v_fma_f32 v17, 0x3df6dbef, v1, -v27
	v_fma_f32 v26, 0x3f116cb1, v53, -v51
	v_mul_f32_e32 v27, 0xbf52af12, v0
	v_fmac_f32_e32 v51, 0x3f116cb1, v53
	s_delay_alu instid0(VALU_DEP_4) | instskip(NEXT) | instid1(VALU_DEP_3)
	v_add_f32_e32 v17, v17, v25
	v_dual_add_f32 v25, v26, v28 :: v_dual_fmamk_f32 v26, v1, 0x3f116cb1, v27
	s_delay_alu instid0(VALU_DEP_1) | instskip(NEXT) | instid1(VALU_DEP_4)
	v_add_f32_e32 v26, v26, v30
	v_add_f32_e32 v30, v51, v45
	v_fmac_f32_e32 v15, 0x3df6dbef, v53
	v_fma_f32 v27, 0x3f116cb1, v1, -v27
	v_fma_f32 v51, 0xbf788fa5, v1, -v54
	s_delay_alu instid0(VALU_DEP_3) | instskip(SKIP_1) | instid1(VALU_DEP_4)
	v_add_f32_e32 v15, v15, v23
	v_mul_f32_e32 v23, 0x3e750f2a, v50
	v_add_f32_e32 v27, v27, v31
	v_fmamk_f32 v31, v1, 0xbf788fa5, v54
	s_delay_alu instid0(VALU_DEP_3) | instskip(NEXT) | instid1(VALU_DEP_1)
	v_fma_f32 v28, 0xbf788fa5, v53, -v23
	v_dual_add_f32 v31, v31, v20 :: v_dual_add_f32 v28, v28, v41
	v_mul_f32_e32 v41, 0x3eedf032, v50
	v_dual_mul_f32 v50, 0xbf6f5d39, v50 :: v_dual_add_f32 v51, v51, v52
	s_delay_alu instid0(VALU_DEP_2) | instskip(SKIP_3) | instid1(VALU_DEP_4)
	v_fma_f32 v20, 0x3f62ad3f, v53, -v41
	v_fmac_f32_e32 v41, 0x3f62ad3f, v53
	v_mul_f32_e32 v45, 0x3eedf032, v0
	v_mul_f32_e32 v0, 0xbf6f5d39, v0
	v_add_f32_e32 v52, v20, v21
	v_fmac_f32_e32 v23, 0xbf788fa5, v53
	v_fma_f32 v21, 0xbeb58ec6, v53, -v50
	v_dual_fmac_f32 v50, 0xbeb58ec6, v53 :: v_dual_add_f32 v53, v5, v3
	s_delay_alu instid0(VALU_DEP_3) | instskip(NEXT) | instid1(VALU_DEP_2)
	v_add_f32_e32 v23, v23, v29
	v_dual_fmamk_f32 v29, v1, 0x3f62ad3f, v45 :: v_dual_add_f32 v50, v50, v24
	s_delay_alu instid0(VALU_DEP_1) | instskip(SKIP_4) | instid1(VALU_DEP_3)
	v_add_f32_e32 v29, v29, v40
	v_add_f32_e32 v40, v41, v49
	v_fma_f32 v20, 0x3f62ad3f, v1, -v45
	v_sub_f32_e32 v41, v3, v5
	v_sub_f32_e32 v49, v2, v4
	v_dual_add_f32 v45, v20, v47 :: v_dual_fmamk_f32 v20, v1, 0xbeb58ec6, v0
	v_fma_f32 v0, 0xbeb58ec6, v1, -v0
	s_delay_alu instid0(VALU_DEP_2) | instskip(NEXT) | instid1(VALU_DEP_1)
	v_dual_mul_f32 v3, 0x3eedf032, v49 :: v_dual_add_f32 v54, v20, v19
	v_dual_add_f32 v55, v0, v6 :: v_dual_fmamk_f32 v6, v53, 0x3f62ad3f, v3
	v_dual_add_f32 v47, v21, v48 :: v_dual_add_f32 v48, v4, v2
	v_mul_f32_e32 v4, 0x3eedf032, v41
	v_mul_f32_e32 v2, 0xbe750f2a, v49
	;; [unrolled: 1-line block ×3, first 2 shown]
	s_delay_alu instid0(VALU_DEP_3) | instskip(SKIP_1) | instid1(VALU_DEP_1)
	v_fma_f32 v5, 0x3f62ad3f, v48, -v4
	v_fmac_f32_e32 v4, 0x3f62ad3f, v48
	v_dual_mul_f32 v21, 0xbe750f2a, v41 :: v_dual_add_f32 v4, v4, v15
	s_delay_alu instid0(VALU_DEP_1) | instskip(NEXT) | instid1(VALU_DEP_1)
	v_fma_f32 v1, 0xbf788fa5, v48, -v21
	v_dual_fmac_f32 v21, 0xbf788fa5, v48 :: v_dual_add_f32 v0, v1, v7
	v_fmamk_f32 v1, v53, 0xbf788fa5, v2
	v_fma_f32 v2, 0xbf788fa5, v53, -v2
	s_delay_alu instid0(VALU_DEP_3) | instskip(SKIP_1) | instid1(VALU_DEP_4)
	v_add_f32_e32 v20, v21, v44
	v_lshl_add_u32 v44, v39, 3, v43
	v_dual_add_f32 v1, v1, v14 :: v_dual_mul_f32 v14, 0xbf29c268, v41
	s_delay_alu instid0(VALU_DEP_4) | instskip(SKIP_2) | instid1(VALU_DEP_4)
	v_dual_add_f32 v21, v2, v18 :: v_dual_add_f32 v2, v5, v16
	v_fma_f32 v5, 0x3f62ad3f, v53, -v3
	v_add_f32_e32 v3, v6, v22
	v_fma_f32 v6, 0xbf3f9e67, v48, -v14
	v_mul_f32_e32 v18, 0x3f52af12, v41
	v_fma_f32 v22, 0xbeb58ec6, v48, -v24
	v_fmac_f32_e32 v24, 0xbeb58ec6, v48
	v_mul_f32_e32 v7, 0xbf29c268, v49
	v_add_f32_e32 v5, v5, v17
	v_add_f32_e32 v6, v6, v25
	v_fma_f32 v17, 0x3f116cb1, v48, -v18
	v_add_f32_e32 v24, v24, v40
	v_fmac_f32_e32 v18, 0x3f116cb1, v48
	v_dual_mul_f32 v25, 0xbf6f5d39, v49 :: v_dual_add_f32 v22, v22, v52
	v_fmamk_f32 v15, v53, 0xbf3f9e67, v7
	v_fma_f32 v16, 0xbf3f9e67, v53, -v7
	s_delay_alu instid0(VALU_DEP_3) | instskip(NEXT) | instid1(VALU_DEP_3)
	v_dual_add_f32 v18, v18, v23 :: v_dual_fmamk_f32 v23, v53, 0xbeb58ec6, v25
	v_dual_fmac_f32 v14, 0xbf3f9e67, v48 :: v_dual_add_f32 v7, v15, v26
	s_delay_alu instid0(VALU_DEP_3) | instskip(SKIP_2) | instid1(VALU_DEP_4)
	v_dual_add_f32 v15, v16, v27 :: v_dual_mul_f32 v26, 0x3f7e222b, v49
	v_add_f32_e32 v16, v17, v28
	v_mul_f32_e32 v28, 0x3f7e222b, v41
	v_dual_add_f32 v23, v23, v29 :: v_dual_add_f32 v14, v14, v30
	s_delay_alu instid0(VALU_DEP_4) | instskip(SKIP_1) | instid1(VALU_DEP_4)
	v_fmamk_f32 v29, v53, 0x3df6dbef, v26
	v_fma_f32 v30, 0x3df6dbef, v53, -v26
	v_fma_f32 v27, 0x3df6dbef, v48, -v28
	v_fmac_f32_e32 v28, 0x3df6dbef, v48
	v_mul_f32_e32 v19, 0x3f52af12, v49
	v_fma_f32 v25, 0xbeb58ec6, v53, -v25
	s_delay_alu instid0(VALU_DEP_4) | instskip(NEXT) | instid1(VALU_DEP_3)
	v_add_f32_e32 v26, v27, v47
	v_dual_add_f32 v28, v28, v50 :: v_dual_fmamk_f32 v17, v53, 0x3f116cb1, v19
	v_fma_f32 v19, 0x3f116cb1, v53, -v19
	v_add_f32_e32 v27, v29, v54
	v_add_f32_e32 v29, v30, v55
	v_mad_u32_u24 v30, 0x68, v32, v43
	v_add_f32_e32 v17, v17, v31
	v_add_f32_e32 v19, v19, v51
	;; [unrolled: 1-line block ×3, first 2 shown]
	v_lshl_add_u32 v45, v37, 3, v43
	ds_store_2addr_b64 v30, v[8:9], v[0:1] offset1:1
	ds_store_2addr_b64 v30, v[2:3], v[6:7] offset0:2 offset1:3
	ds_store_2addr_b64 v30, v[16:17], v[22:23] offset0:4 offset1:5
	;; [unrolled: 1-line block ×5, first 2 shown]
	ds_store_b64 v30, v[20:21] offset:96
	global_wb scope:SCOPE_SE
	s_wait_dscnt 0x0
	s_barrier_signal -1
	s_barrier_wait -1
	global_inv scope:SCOPE_SE
	ds_load_b64 v[22:23], v42
	ds_load_2addr_b64 v[0:3], v13 offset0:93 offset1:161
	ds_load_2addr_b64 v[4:7], v11 offset0:101 offset1:186
	;; [unrolled: 1-line block ×4, first 2 shown]
	ds_load_b64 v[24:25], v44
	ds_load_b64 v[26:27], v45
	ds_load_b64 v[28:29], v33 offset:6392
                                        ; implicit-def: $vgpr17
                                        ; implicit-def: $vgpr31
	s_and_saveexec_b32 s1, s0
	s_cbranch_execz .LBB0_14
; %bb.13:
	v_lshlrev_b32_e32 v16, 3, v36
	v_add_nc_u32_e32 v17, 0xd00, v33
	s_delay_alu instid0(VALU_DEP_2)
	v_add3_u32 v20, 0, v16, v46
	ds_load_2addr_b64 v[16:19], v17 offset0:9 offset1:230
	ds_load_b64 v[20:21], v20
	ds_load_b64 v[30:31], v33 offset:6936
.LBB0_14:
	s_wait_alu 0xfffe
	s_or_b32 exec_lo, exec_lo, s1
	v_and_b32_e32 v40, 0xff, v32
	v_and_b32_e32 v41, 0xff, v37
	s_delay_alu instid0(VALU_DEP_2) | instskip(NEXT) | instid1(VALU_DEP_1)
	v_mul_lo_u16 v40, 0x4f, v40
	v_lshrrev_b16 v70, 10, v40
	s_delay_alu instid0(VALU_DEP_3) | instskip(SKIP_1) | instid1(VALU_DEP_3)
	v_mul_lo_u16 v40, 0x4f, v41
	v_and_b32_e32 v41, 0xff, v39
	v_mul_lo_u16 v47, v70, 13
	s_delay_alu instid0(VALU_DEP_3) | instskip(NEXT) | instid1(VALU_DEP_3)
	v_lshrrev_b16 v71, 10, v40
	v_mul_lo_u16 v40, 0x4f, v41
	v_and_b32_e32 v41, 0xffff, v36
	s_delay_alu instid0(VALU_DEP_4) | instskip(NEXT) | instid1(VALU_DEP_4)
	v_sub_nc_u16 v47, v32, v47
	v_mul_lo_u16 v48, v71, 13
	s_delay_alu instid0(VALU_DEP_4) | instskip(NEXT) | instid1(VALU_DEP_4)
	v_lshrrev_b16 v72, 10, v40
	v_mul_u32_u24_e32 v40, 0x4ec5, v41
	v_and_b32_e32 v71, 0xffff, v71
	v_and_b32_e32 v73, 0xff, v47
	v_sub_nc_u16 v41, v37, v48
	v_mul_lo_u16 v47, v72, 13
	v_lshrrev_b32_e32 v40, 18, v40
	v_mad_u32_u24 v71, 0x1a0, v71, 0
	v_mul_u32_u24_e32 v48, 3, v73
	s_delay_alu instid0(VALU_DEP_3) | instskip(NEXT) | instid1(VALU_DEP_2)
	v_mul_lo_u16 v40, v40, 13
	v_lshlrev_b32_e32 v52, 3, v48
	s_delay_alu instid0(VALU_DEP_2) | instskip(SKIP_3) | instid1(VALU_DEP_2)
	v_sub_nc_u16 v40, v36, v40
	global_load_b128 v[48:51], v52, s[4:5]
	v_and_b32_e32 v74, 0xff, v41
	v_sub_nc_u16 v41, v39, v47
	v_mul_u32_u24_e32 v47, 3, v74
	s_delay_alu instid0(VALU_DEP_2) | instskip(NEXT) | instid1(VALU_DEP_2)
	v_and_b32_e32 v75, 0xff, v41
	v_lshlrev_b32_e32 v56, 3, v47
	s_delay_alu instid0(VALU_DEP_2)
	v_mul_u32_u24_e32 v57, 3, v75
	v_and_b32_e32 v47, 0xffff, v40
	s_clause 0x1
	global_load_b64 v[40:41], v52, s[4:5] offset:16
	global_load_b128 v[52:55], v56, s[4:5]
	v_and_b32_e32 v70, 0xffff, v70
	v_lshlrev_b32_e32 v60, 3, v57
	s_clause 0x1
	global_load_b64 v[64:65], v56, s[4:5] offset:16
	global_load_b128 v[56:59], v60, s[4:5]
	v_and_b32_e32 v72, 0xffff, v72
	s_wait_loadcnt_dscnt 0x203
	v_dual_mul_f32 v76, v53, v3 :: v_dual_mul_f32 v77, v55, v9
	v_mad_u32_u24 v70, 0x1a0, v70, 0
	v_mul_f32_e32 v53, v53, v2
	s_wait_loadcnt 0x1
	v_mul_f32_e32 v78, v65, v15
	s_wait_loadcnt 0x0
	v_dual_mul_f32 v65, v65, v14 :: v_dual_mul_f32 v80, v59, v11
	v_mul_u32_u24_e32 v61, 3, v47
	v_mad_u32_u24 v72, 0x1a0, v72, 0
	v_lshlrev_b32_e32 v75, 3, v75
	s_delay_alu instid0(VALU_DEP_4) | instskip(SKIP_2) | instid1(VALU_DEP_4)
	v_fmac_f32_e32 v65, v64, v15
	v_mul_f32_e32 v79, v57, v5
	v_dual_fmac_f32 v53, v52, v3 :: v_dual_lshlrev_b32 v68, 3, v61
	v_add3_u32 v72, v72, v75, v46
	v_mul_f32_e32 v75, v41, v13
	v_mul_f32_e32 v41, v41, v12
	s_clause 0x2
	global_load_b64 v[66:67], v60, s[4:5] offset:16
	global_load_b128 v[60:63], v68, s[4:5]
	global_load_b64 v[68:69], v68, s[4:5] offset:16
	v_mul_f32_e32 v55, v55, v8
	v_fma_f32 v3, v54, v8, -v77
	v_mul_f32_e32 v59, v59, v10
	v_fma_f32 v8, v56, v4, -v79
	v_fma_f32 v2, v52, v2, -v76
	v_fmac_f32_e32 v55, v54, v9
	s_wait_dscnt 0x1
	v_sub_f32_e32 v3, v26, v3
	v_mul_f32_e32 v57, v57, v4
	v_fma_f32 v4, v58, v10, -v80
	global_wb scope:SCOPE_SE
	s_wait_loadcnt_dscnt 0x0
	s_barrier_signal -1
	s_barrier_wait -1
	global_inv scope:SCOPE_SE
	v_mul_f32_e32 v81, v29, v67
	v_mul_f32_e32 v83, v19, v63
	;; [unrolled: 1-line block ×3, first 2 shown]
	v_lshlrev_b32_e32 v73, 3, v73
	v_dual_mul_f32 v63, v18, v63 :: v_dual_mul_f32 v82, v17, v61
	s_delay_alu instid0(VALU_DEP_4) | instskip(SKIP_1) | instid1(VALU_DEP_4)
	v_fma_f32 v10, v18, v62, -v83
	v_sub_f32_e32 v18, v27, v55
	v_add3_u32 v70, v70, v73, v46
	v_mul_f32_e32 v73, v49, v1
	v_dual_mul_f32 v49, v49, v0 :: v_dual_lshlrev_b32 v74, 3, v74
	v_fmac_f32_e32 v63, v19, v62
	v_sub_f32_e32 v19, v24, v4
	v_mul_f32_e32 v67, v28, v67
	v_mul_f32_e32 v61, v16, v61
	v_add3_u32 v71, v71, v74, v46
	v_mul_f32_e32 v74, v51, v7
	v_mul_f32_e32 v51, v51, v6
	v_fmac_f32_e32 v67, v29, v66
	v_mul_f32_e32 v69, v30, v69
	v_fma_f32 v9, v16, v60, -v82
	v_sub_f32_e32 v29, v20, v10
	v_fmac_f32_e32 v51, v50, v7
	v_fma_f32 v7, v64, v14, -v78
	v_sub_f32_e32 v14, v53, v65
	v_fmac_f32_e32 v41, v40, v13
	v_fma_f32 v0, v48, v0, -v73
	v_sub_f32_e32 v13, v23, v51
	s_delay_alu instid0(VALU_DEP_4) | instskip(SKIP_2) | instid1(VALU_DEP_3)
	v_dual_sub_f32 v7, v2, v7 :: v_dual_sub_f32 v4, v3, v14
	v_fmac_f32_e32 v57, v56, v5
	v_fma_f32 v5, v28, v66, -v81
	v_fma_f32 v2, v2, 2.0, -v7
	s_delay_alu instid0(VALU_DEP_3)
	v_sub_f32_e32 v16, v57, v67
	v_fmac_f32_e32 v59, v58, v11
	v_fma_f32 v11, v30, v68, -v84
	v_fmac_f32_e32 v49, v48, v1
	v_fma_f32 v1, v50, v6, -v74
	v_fma_f32 v6, v40, v12, -v75
	v_sub_f32_e32 v28, v25, v59
	v_sub_f32_e32 v10, v9, v11
	v_fmac_f32_e32 v61, v17, v60
	v_dual_sub_f32 v40, v21, v63 :: v_dual_fmac_f32 v69, v31, v68
	v_dual_sub_f32 v12, v22, v1 :: v_dual_sub_f32 v1, v0, v6
	v_sub_f32_e32 v15, v8, v5
	v_add_f32_e32 v5, v18, v7
	s_delay_alu instid0(VALU_DEP_4)
	v_sub_f32_e32 v11, v61, v69
	v_fma_f32 v7, v24, 2.0, -v19
	v_fma_f32 v48, v23, 2.0, -v13
	;; [unrolled: 1-line block ×4, first 2 shown]
	v_sub_f32_e32 v24, v29, v11
	v_sub_f32_e32 v6, v49, v41
	v_fma_f32 v41, v22, 2.0, -v12
	v_fma_f32 v22, v0, 2.0, -v1
	;; [unrolled: 1-line block ×5, first 2 shown]
	v_sub_f32_e32 v0, v12, v6
	v_fma_f32 v6, v26, 2.0, -v3
	v_fma_f32 v26, v27, 2.0, -v18
	;; [unrolled: 1-line block ×6, first 2 shown]
	v_dual_add_f32 v1, v13, v1 :: v_dual_sub_f32 v16, v19, v16
	v_add_f32_e32 v17, v28, v15
	v_add_f32_e32 v25, v40, v10
	v_dual_sub_f32 v10, v41, v22 :: v_dual_sub_f32 v11, v48, v23
	v_sub_f32_e32 v14, v6, v2
	v_dual_sub_f32 v15, v26, v27 :: v_dual_sub_f32 v22, v7, v30
	v_dual_sub_f32 v23, v49, v31 :: v_dual_sub_f32 v30, v50, v52
	v_sub_f32_e32 v31, v51, v53
	v_fma_f32 v8, v12, 2.0, -v0
	v_fma_f32 v9, v13, 2.0, -v1
	;; [unrolled: 1-line block ×16, first 2 shown]
	ds_store_2addr_b64 v70, v[10:11], v[0:1] offset0:26 offset1:39
	ds_store_2addr_b64 v70, v[40:41], v[8:9] offset1:13
	ds_store_2addr_b64 v71, v[2:3], v[12:13] offset1:13
	ds_store_2addr_b64 v71, v[14:15], v[4:5] offset0:26 offset1:39
	ds_store_2addr_b64 v72, v[6:7], v[20:21] offset1:13
	ds_store_2addr_b64 v72, v[22:23], v[16:17] offset0:26 offset1:39
	s_and_saveexec_b32 s1, s0
	s_cbranch_execz .LBB0_16
; %bb.15:
	v_and_b32_e32 v26, 0xff, v36
	v_lshlrev_b32_e32 v27, 3, v47
	s_delay_alu instid0(VALU_DEP_2) | instskip(NEXT) | instid1(VALU_DEP_1)
	v_mul_lo_u16 v26, 0x4f, v26
	v_lshrrev_b16 v26, 10, v26
	s_delay_alu instid0(VALU_DEP_1) | instskip(NEXT) | instid1(VALU_DEP_1)
	v_and_b32_e32 v26, 0xffff, v26
	v_mad_u32_u24 v26, 0x1a0, v26, 0
	s_delay_alu instid0(VALU_DEP_1)
	v_add3_u32 v26, v26, v27, v46
	ds_store_2addr_b64 v26, v[18:19], v[28:29] offset1:13
	ds_store_2addr_b64 v26, v[30:31], v[24:25] offset0:26 offset1:39
.LBB0_16:
	s_wait_alu 0xfffe
	s_or_b32 exec_lo, exec_lo, s1
	v_cmp_gt_u32_e64 s0, 52, v32
	global_wb scope:SCOPE_SE
	s_wait_dscnt 0x0
	s_barrier_signal -1
	s_barrier_wait -1
	global_inv scope:SCOPE_SE
	s_and_saveexec_b32 s1, s0
	s_cbranch_execz .LBB0_18
; %bb.17:
	v_add_nc_u32_e32 v4, 0x800, v33
	v_add_nc_u32_e32 v16, 0xc00, v33
	;; [unrolled: 1-line block ×4, first 2 shown]
	ds_load_b64 v[40:41], v42
	ds_load_2addr_b64 v[8:11], v33 offset0:52 offset1:104
	ds_load_2addr_b64 v[0:3], v33 offset0:156 offset1:208
	ds_load_2addr_b64 v[12:15], v4 offset0:4 offset1:56
	ds_load_2addr_b64 v[4:7], v4 offset0:108 offset1:160
	ds_load_2addr_b64 v[20:23], v16 offset0:84 offset1:136
	ds_load_2addr_b64 v[16:19], v24 offset0:60 offset1:112
	ds_load_2addr_b64 v[28:31], v24 offset0:164 offset1:216
	ds_load_2addr_b64 v[24:27], v25 offset0:12 offset1:64
.LBB0_18:
	s_wait_alu 0xfffe
	s_or_b32 exec_lo, exec_lo, s1
	global_wb scope:SCOPE_SE
	s_wait_dscnt 0x0
	s_barrier_signal -1
	s_barrier_wait -1
	global_inv scope:SCOPE_SE
	s_and_saveexec_b32 s1, s0
	s_cbranch_execz .LBB0_20
; %bb.19:
	v_dual_mov_b32 v47, 0 :: v_dual_lshlrev_b32 v46, 4, v32
	s_delay_alu instid0(VALU_DEP_1) | instskip(NEXT) | instid1(VALU_DEP_1)
	v_add_nc_u32_e32 v48, 0xfffffcc0, v46
	v_cndmask_b32_e64 v46, v48, v46, s0
	s_delay_alu instid0(VALU_DEP_1) | instskip(NEXT) | instid1(VALU_DEP_1)
	v_lshlrev_b64_e32 v[46:47], 3, v[46:47]
	v_add_co_u32 v46, s0, s4, v46
	s_wait_alu 0xf1ff
	s_delay_alu instid0(VALU_DEP_2)
	v_add_co_ci_u32_e64 v47, s0, s5, v47, s0
	s_clause 0x7
	global_load_b128 v[50:53], v[46:47], off offset:424
	global_load_b128 v[69:72], v[46:47], off offset:312
	;; [unrolled: 1-line block ×8, first 2 shown]
	s_wait_loadcnt 0x6
	v_dual_mul_f32 v46, v26, v53 :: v_dual_mul_f32 v57, v8, v70
	v_dual_mul_f32 v55, v9, v70 :: v_dual_mul_f32 v62, v11, v72
	v_mul_f32_e32 v53, v27, v53
	s_wait_loadcnt 0x5
	v_dual_mul_f32 v47, v24, v51 :: v_dual_mul_f32 v48, v30, v76
	s_wait_loadcnt 0x4
	v_dual_mul_f32 v59, v10, v72 :: v_dual_mul_f32 v72, v3, v82
	v_dual_mul_f32 v51, v25, v51 :: v_dual_mul_f32 v58, v0, v80
	v_dual_mul_f32 v66, v1, v80 :: v_dual_mul_f32 v49, v28, v74
	s_wait_loadcnt 0x1
	v_dual_mul_f32 v70, v31, v76 :: v_dual_mul_f32 v63, v22, v94
	v_dual_mul_f32 v60, v2, v82 :: v_dual_mul_f32 v61, v12, v88
	;; [unrolled: 1-line block ×4, first 2 shown]
	v_dual_mul_f32 v56, v16, v84 :: v_dual_fmac_f32 v57, v9, v69
	v_dual_mul_f32 v64, v14, v90 :: v_dual_fmac_f32 v59, v11, v71
	;; [unrolled: 1-line block ×5, first 2 shown]
	s_wait_loadcnt 0x0
	v_dual_mul_f32 v74, v29, v74 :: v_dual_mul_f32 v65, v4, v96
	v_mul_f32_e32 v68, v6, v98
	v_dual_mul_f32 v94, v7, v98 :: v_dual_fmac_f32 v67, v21, v91
	v_fma_f32 v80, v8, v69, -v55
	v_dual_fmac_f32 v46, v27, v52 :: v_dual_fmac_f32 v47, v25, v50
	v_fma_f32 v52, v26, v52, -v53
	v_fmac_f32_e32 v48, v31, v75
	v_fma_f32 v55, v30, v75, -v70
	v_fma_f32 v77, v12, v87, -v77
	;; [unrolled: 1-line block ×4, first 2 shown]
	v_mul_f32_e32 v92, v21, v92
	v_fma_f32 v70, v22, v93, -v90
	v_fmac_f32_e32 v58, v1, v79
	v_fma_f32 v79, v0, v79, -v66
	v_fma_f32 v66, v18, v85, -v82
	v_fmac_f32_e32 v54, v19, v85
	v_fma_f32 v76, v10, v71, -v62
	v_fma_f32 v53, v24, v50, -v51
	;; [unrolled: 1-line block ×3, first 2 shown]
	v_dual_fmac_f32 v56, v17, v83 :: v_dual_add_f32 v51, v80, v52
	v_dual_fmac_f32 v65, v5, v95 :: v_dual_fmac_f32 v68, v7, v97
	v_fma_f32 v73, v6, v97, -v94
	v_sub_f32_e32 v83, v75, v69
	v_fma_f32 v71, v20, v91, -v92
	s_delay_alu instid0(VALU_DEP_4)
	v_add_f32_e32 v19, v65, v63
	v_dual_sub_f32 v91, v77, v66 :: v_dual_fmac_f32 v64, v15, v89
	v_add_f32_e32 v21, v61, v54
	v_sub_f32_e32 v90, v57, v46
	v_dual_mul_f32 v88, v5, v96 :: v_dual_sub_f32 v93, v79, v55
	v_fma_f32 v78, v2, v81, -v72
	v_dual_add_f32 v50, v57, v46 :: v_dual_add_f32 v31, v76, v53
	v_dual_sub_f32 v94, v76, v53 :: v_dual_sub_f32 v89, v59, v47
	v_dual_sub_f32 v72, v73, v71 :: v_dual_sub_f32 v85, v64, v56
	v_dual_mul_f32 v99, 0x3f3d2fb0, v21 :: v_dual_sub_f32 v82, v68, v67
	v_mul_f32_e32 v17, 0xbf7ee86f, v90
	v_fma_f32 v74, v4, v95, -v88
	v_dual_add_f32 v24, v59, v47 :: v_dual_add_f32 v29, v78, v62
	v_dual_add_f32 v20, v64, v56 :: v_dual_add_f32 v27, v75, v69
	v_dual_sub_f32 v86, v61, v54 :: v_dual_mul_f32 v105, 0xbeb8f4ab, v85
	v_dual_mul_f32 v120, 0x3dbcf732, v50 :: v_dual_fmamk_f32 v165, v51, 0x3dbcf732, v17
	s_delay_alu instid0(VALU_DEP_2)
	v_dual_mul_f32 v16, 0xbe3c28d5, v89 :: v_dual_mul_f32 v135, 0xbe3c28d5, v86
	v_dual_sub_f32 v95, v80, v52 :: v_dual_fmac_f32 v60, v3, v81
	v_sub_f32_e32 v81, v74, v70
	v_add_f32_e32 v23, v58, v48
	v_dual_mul_f32 v14, 0xbf7ba420, v24 :: v_dual_mul_f32 v143, 0xbf7ba420, v50
	v_dual_mul_f32 v140, 0xbf763a35, v90 :: v_dual_add_f32 v165, v40, v165
	v_dual_mul_f32 v11, 0xbf7ba420, v20 :: v_dual_fmamk_f32 v166, v31, 0xbf7ba420, v16
	v_dual_add_f32 v30, v79, v55 :: v_dual_mul_f32 v111, 0xbf65296c, v90
	v_dual_mul_f32 v102, 0xbf7ba420, v23 :: v_dual_mul_f32 v131, 0xbf7ba420, v21
	s_delay_alu instid0(VALU_DEP_3)
	v_dual_mul_f32 v4, 0x3dbcf732, v23 :: v_dual_add_f32 v165, v166, v165
	v_fmamk_f32 v166, v95, 0x3e3c28d5, v143
	v_fmac_f32_e32 v143, 0xbe3c28d5, v95
	v_dual_mul_f32 v124, 0xbe8c1d8e, v23 :: v_dual_fmamk_f32 v169, v51, 0xbe8c1d8e, v140
	v_mul_f32_e32 v158, 0x3f7ee86f, v82
	v_dual_add_f32 v18, v68, v67 :: v_dual_mul_f32 v103, 0xbf1a4643, v24
	s_delay_alu instid0(VALU_DEP_4)
	v_dual_add_f32 v143, v41, v143 :: v_dual_fmamk_f32 v160, v51, 0x3ee437d1, v111
	v_mul_f32_e32 v137, 0x3f06c442, v89
	v_dual_mul_f32 v110, 0xbf4c4adb, v89 :: v_dual_mul_f32 v127, 0xbf4c4adb, v95
	v_dual_mul_f32 v126, 0xbf4c4adb, v82 :: v_dual_add_f32 v169, v40, v169
	v_dual_mul_f32 v142, 0xbe3c28d5, v85 :: v_dual_mul_f32 v145, 0xbe3c28d5, v90
	v_dual_add_f32 v160, v40, v160 :: v_dual_mul_f32 v147, 0xbf59a7d5, v23
	v_fmamk_f32 v170, v31, 0xbf59a7d5, v137
	v_dual_sub_f32 v92, v78, v62 :: v_dual_sub_f32 v87, v60, v49
	v_dual_mul_f32 v106, 0x3ee437d1, v50 :: v_dual_mul_f32 v1, 0x3ee437d1, v24
	v_dual_mul_f32 v117, 0xbf06c442, v85 :: v_dual_mul_f32 v2, 0xbf06c442, v90
	v_dual_mul_f32 v125, 0xbf1a4643, v18 :: v_dual_fmamk_f32 v162, v31, 0xbf1a4643, v110
	v_dual_mul_f32 v144, 0x3f6eb680, v24 :: v_dual_add_f32 v169, v170, v169
	v_fmamk_f32 v170, v51, 0xbf7ba420, v145
	v_fma_f32 v145, 0xbf7ba420, v51, -v145
	v_dual_sub_f32 v88, v58, v48 :: v_dual_mul_f32 v97, 0x3dbcf732, v19
	v_dual_sub_f32 v84, v65, v63 :: v_dual_mul_f32 v107, 0x3f2c7751, v86
	v_dual_mul_f32 v15, 0xbf59a7d5, v24 :: v_dual_mul_f32 v0, 0xbf59a7d5, v50
	v_dual_mul_f32 v3, 0x3f65296c, v89 :: v_dual_add_f32 v160, v162, v160
	v_dual_mul_f32 v150, 0x3f2c7751, v87 :: v_dual_add_f32 v145, v40, v145
	v_dual_mul_f32 v154, 0x3f65296c, v85 :: v_dual_fmamk_f32 v159, v95, 0x3f65296c, v106
	v_fmamk_f32 v162, v51, 0xbf59a7d5, v2
	v_mul_f32_e32 v104, 0xbf7ee86f, v84
	v_mul_f32_e32 v5, 0xbf7ee86f, v88
	v_dual_fmamk_f32 v161, v94, 0x3f4c4adb, v103 :: v_dual_add_f32 v170, v40, v170
	s_delay_alu instid0(VALU_DEP_4) | instskip(SKIP_2) | instid1(VALU_DEP_3)
	v_dual_add_f32 v159, v41, v159 :: v_dual_add_f32 v162, v40, v162
	v_fmamk_f32 v171, v95, 0x3f06c442, v0
	v_dual_mul_f32 v115, 0x3eb8f4ab, v87 :: v_dual_mul_f32 v146, 0x3eb8f4ab, v89
	v_dual_mul_f32 v128, 0xbe8c1d8e, v50 :: v_dual_add_f32 v159, v161, v159
	s_delay_alu instid0(VALU_DEP_3)
	v_dual_mul_f32 v10, 0x3f2c7751, v84 :: v_dual_add_f32 v171, v41, v171
	v_dual_mul_f32 v151, 0xbf1a4643, v21 :: v_dual_add_f32 v166, v41, v166
	v_fmamk_f32 v161, v94, 0xbf65296c, v1
	v_dual_mul_f32 v134, 0x3f7ee86f, v85 :: v_dual_fmamk_f32 v163, v95, 0x3f7ee86f, v120
	v_mul_f32_e32 v152, 0xbf4c4adb, v86
	v_fmac_f32_e32 v0, 0xbf06c442, v95
	s_delay_alu instid0(VALU_DEP_4)
	v_add_f32_e32 v161, v161, v171
	v_fma_f32 v2, 0xbf59a7d5, v51, -v2
	v_fmamk_f32 v171, v31, 0x3f6eb680, v146
	v_dual_mul_f32 v114, 0x3f2c7751, v82 :: v_dual_add_f32 v163, v41, v163
	v_dual_mul_f32 v9, 0xbeb8f4ab, v86 :: v_dual_add_f32 v0, v41, v0
	v_fmac_f32_e32 v1, 0x3f65296c, v94
	v_add_f32_e32 v2, v40, v2
	v_dual_add_f32 v170, v171, v170 :: v_dual_fmamk_f32 v171, v93, 0xbf763a35, v124
	v_fmamk_f32 v164, v94, 0x3e3c28d5, v14
	v_mul_f32_e32 v138, 0x3f2c7751, v88
	v_dual_add_f32 v22, v60, v49 :: v_dual_add_f32 v25, v73, v71
	v_dual_mul_f32 v108, 0x3f763a35, v87 :: v_dual_fmamk_f32 v167, v95, 0x3f763a35, v128
	s_delay_alu instid0(VALU_DEP_4) | instskip(NEXT) | instid1(VALU_DEP_4)
	v_dual_add_f32 v163, v164, v163 :: v_dual_add_f32 v0, v1, v0
	v_fmamk_f32 v1, v30, 0x3f3d2fb0, v138
	v_fmamk_f32 v164, v31, 0x3ee437d1, v3
	v_dual_mul_f32 v136, 0x3f3d2fb0, v23 :: v_dual_mul_f32 v149, 0x3f3d2fb0, v22
	v_dual_mul_f32 v132, 0x3ee437d1, v22 :: v_dual_add_f32 v167, v41, v167
	v_fma_f32 v146, 0x3f6eb680, v31, -v146
	v_fma_f32 v3, 0x3ee437d1, v31, -v3
	v_dual_add_f32 v1, v1, v169 :: v_dual_add_f32 v162, v164, v162
	v_fmamk_f32 v164, v93, 0xbe3c28d5, v102
	v_fmamk_f32 v168, v94, 0xbf06c442, v15
	v_dual_add_f32 v28, v77, v66 :: v_dual_mul_f32 v109, 0x3e3c28d5, v88
	v_dual_add_f32 v26, v74, v70 :: v_dual_mul_f32 v119, 0x3f763a35, v88
	v_dual_mul_f32 v98, 0x3f6eb680, v20 :: v_dual_mul_f32 v121, 0x3f6eb680, v22
	v_dual_mul_f32 v101, 0xbf06c442, v82 :: v_dual_mul_f32 v148, 0xbf06c442, v88
	v_mul_f32_e32 v133, 0xbeb8f4ab, v84
	v_dual_add_f32 v145, v146, v145 :: v_dual_fmamk_f32 v146, v93, 0xbf2c7751, v136
	v_fmamk_f32 v169, v91, 0xbf2c7751, v99
	v_dual_add_f32 v2, v3, v2 :: v_dual_fmamk_f32 v3, v93, 0x3f7ee86f, v4
	v_dual_add_f32 v159, v164, v159 :: v_dual_mul_f32 v12, 0xbe8c1d8e, v18
	v_dual_add_f32 v167, v168, v167 :: v_dual_fmamk_f32 v168, v94, 0xbeb8f4ab, v144
	s_delay_alu instid0(VALU_DEP_3) | instskip(SKIP_2) | instid1(VALU_DEP_4)
	v_dual_fmac_f32 v144, 0x3eb8f4ab, v94 :: v_dual_add_f32 v3, v3, v161
	v_dual_mul_f32 v100, 0xbe8c1d8e, v22 :: v_dual_mul_f32 v155, 0xbe8c1d8e, v19
	v_dual_mul_f32 v116, 0xbf65296c, v86 :: v_dual_mul_f32 v139, 0xbf65296c, v87
	v_add_f32_e32 v166, v168, v166
	s_delay_alu instid0(VALU_DEP_4) | instskip(SKIP_4) | instid1(VALU_DEP_4)
	v_dual_add_f32 v143, v144, v143 :: v_dual_fmamk_f32 v168, v30, 0xbf7ba420, v109
	v_dual_fmamk_f32 v144, v30, 0xbe8c1d8e, v119 :: v_dual_add_f32 v163, v171, v163
	v_dual_add_f32 v146, v146, v167 :: v_dual_fmamk_f32 v161, v92, 0xbeb8f4ab, v121
	v_fmamk_f32 v164, v30, 0x3dbcf732, v5
	v_fmamk_f32 v167, v29, 0xbe8c1d8e, v108
	v_dual_fmamk_f32 v171, v30, 0xbf59a7d5, v148 :: v_dual_add_f32 v144, v144, v165
	v_dual_mul_f32 v113, 0xbf1a4643, v19 :: v_dual_mul_f32 v6, 0xbf1a4643, v22
	v_dual_mul_f32 v118, 0x3f4c4adb, v84 :: v_dual_mul_f32 v7, 0x3f4c4adb, v87
	v_add_f32_e32 v160, v168, v160
	v_fma_f32 v148, 0xbf59a7d5, v30, -v148
	v_dual_fmamk_f32 v165, v92, 0xbf763a35, v100 :: v_dual_add_f32 v170, v171, v170
	v_fma_f32 v5, 0x3dbcf732, v30, -v5
	v_fmamk_f32 v171, v29, 0x3ee437d1, v139
	v_fmamk_f32 v168, v93, 0x3f06c442, v147
	v_fmac_f32_e32 v147, 0xbf06c442, v93
	v_dual_add_f32 v161, v161, v163 :: v_dual_add_f32 v162, v164, v162
	v_dual_mul_f32 v122, 0x3ee437d1, v21 :: v_dual_mul_f32 v153, 0x3ee437d1, v20
	s_delay_alu instid0(VALU_DEP_3)
	v_add_f32_e32 v143, v147, v143
	v_dual_fmamk_f32 v147, v92, 0xbf4c4adb, v6 :: v_dual_add_f32 v2, v5, v2
	v_fmac_f32_e32 v4, 0xbf7ee86f, v93
	v_dual_add_f32 v145, v148, v145 :: v_dual_fmamk_f32 v148, v29, 0xbf1a4643, v7
	v_fmamk_f32 v5, v29, 0x3f3d2fb0, v150
	v_fma_f32 v7, 0xbf1a4643, v29, -v7
	v_dual_add_f32 v1, v171, v1 :: v_dual_add_f32 v166, v168, v166
	v_dual_mul_f32 v96, 0xbf59a7d5, v18 :: v_dual_mul_f32 v123, 0xbf59a7d5, v20
	s_delay_alu instid0(VALU_DEP_4) | instskip(SKIP_4) | instid1(VALU_DEP_4)
	v_dual_fmamk_f32 v168, v92, 0x3f65296c, v132 :: v_dual_add_f32 v5, v5, v170
	v_add_f32_e32 v159, v165, v159
	v_dual_fmamk_f32 v165, v28, 0x3f3d2fb0, v107 :: v_dual_add_f32 v160, v167, v160
	v_fma_f32 v150, 0x3f3d2fb0, v29, -v150
	v_fmamk_f32 v164, v29, 0x3f6eb680, v115
	v_dual_fmac_f32 v6, 0x3f4c4adb, v92 :: v_dual_add_f32 v159, v169, v159
	v_dual_add_f32 v3, v147, v3 :: v_dual_add_f32 v0, v4, v0
	v_fmamk_f32 v167, v83, 0x3eb8f4ab, v98
	v_fmamk_f32 v4, v92, 0xbf2c7751, v149
	v_dual_fmac_f32 v149, 0x3f2c7751, v92 :: v_dual_add_f32 v146, v168, v146
	v_dual_add_f32 v2, v7, v2 :: v_dual_fmamk_f32 v169, v25, 0xbf59a7d5, v101
	v_fmamk_f32 v7, v28, 0xbf1a4643, v152
	v_dual_fmamk_f32 v147, v91, 0x3f65296c, v122 :: v_dual_add_f32 v148, v148, v162
	v_fmamk_f32 v170, v28, 0xbf7ba420, v135
	v_dual_mul_f32 v129, 0x3f6eb680, v19 :: v_dual_mul_f32 v8, 0x3f6eb680, v21
	v_dual_fmamk_f32 v171, v72, 0x3f06c442, v96 :: v_dual_add_f32 v0, v6, v0
	v_dual_add_f32 v143, v149, v143 :: v_dual_add_f32 v4, v4, v166
	s_delay_alu instid0(VALU_DEP_3)
	v_fmamk_f32 v149, v91, 0x3eb8f4ab, v8
	v_add_f32_e32 v145, v150, v145
	v_dual_fmamk_f32 v163, v27, 0x3f6eb680, v105 :: v_dual_add_f32 v144, v164, v144
	v_dual_fmamk_f32 v164, v81, 0x3f7ee86f, v97 :: v_dual_add_f32 v147, v147, v161
	v_dual_add_f32 v160, v165, v160 :: v_dual_fmamk_f32 v165, v83, 0x3f06c442, v123
	v_fmamk_f32 v6, v91, 0x3f4c4adb, v151
	v_dual_add_f32 v5, v7, v5 :: v_dual_fmamk_f32 v162, v28, 0x3ee437d1, v116
	v_add_f32_e32 v1, v170, v1
	v_fmac_f32_e32 v151, 0xbf4c4adb, v91
	v_dual_mul_f32 v130, 0x3dbcf732, v20 :: v_dual_mul_f32 v157, 0x3dbcf732, v18
	v_fma_f32 v152, 0xbf1a4643, v28, -v152
	v_fmamk_f32 v166, v91, 0x3e3c28d5, v131
	v_add_f32_e32 v144, v162, v144
	v_dual_fmamk_f32 v150, v28, 0x3f6eb680, v9 :: v_dual_add_f32 v143, v151, v143
	v_fma_f32 v9, 0x3f6eb680, v28, -v9
	v_dual_add_f32 v147, v165, v147 :: v_dual_add_f32 v4, v6, v4
	v_fmamk_f32 v7, v81, 0x3eb8f4ab, v129
	v_fmamk_f32 v6, v27, 0x3dbcf732, v134
	v_dual_mul_f32 v112, 0x3f3d2fb0, v18 :: v_dual_mul_f32 v141, 0x3f3d2fb0, v19
	v_dual_fmamk_f32 v168, v26, 0x3dbcf732, v104 :: v_dual_add_f32 v3, v149, v3
	s_delay_alu instid0(VALU_DEP_3) | instskip(SKIP_3) | instid1(VALU_DEP_4)
	v_dual_fmac_f32 v8, 0xbeb8f4ab, v91 :: v_dual_add_f32 v1, v6, v1
	v_fmamk_f32 v162, v81, 0xbf4c4adb, v113
	v_dual_fmamk_f32 v149, v25, 0x3f3d2fb0, v114 :: v_dual_add_f32 v148, v150, v148
	v_fmamk_f32 v150, v83, 0xbf7ee86f, v130
	v_dual_fmamk_f32 v151, v83, 0x3e3c28d5, v11 :: v_dual_add_f32 v0, v8, v0
	v_add_f32_e32 v145, v152, v145
	v_dual_fmamk_f32 v161, v27, 0xbf59a7d5, v117 :: v_dual_add_f32 v146, v166, v146
	v_dual_add_f32 v172, v9, v2 :: v_dual_add_f32 v9, v167, v159
	v_fmamk_f32 v159, v27, 0x3ee437d1, v154
	v_fma_f32 v154, 0x3ee437d1, v27, -v154
	v_dual_mul_f32 v13, 0xbf763a35, v82 :: v_dual_mul_f32 v156, 0xbf763a35, v84
	v_dual_fmamk_f32 v166, v26, 0xbf1a4643, v118 :: v_dual_add_f32 v3, v151, v3
	v_fmamk_f32 v170, v72, 0xbf2c7751, v112
	s_delay_alu instid0(VALU_DEP_4)
	v_dual_fmamk_f32 v152, v27, 0xbf7ba420, v142 :: v_dual_add_f32 v145, v154, v145
	v_dual_fmamk_f32 v2, v26, 0x3f6eb680, v133 :: v_dual_add_f32 v5, v159, v5
	v_dual_add_f32 v160, v163, v160 :: v_dual_fmamk_f32 v163, v72, 0x3f4c4adb, v125
	v_fmamk_f32 v8, v83, 0xbf65296c, v153
	v_dual_fmac_f32 v153, 0x3f65296c, v83 :: v_dual_add_f32 v144, v161, v144
	v_dual_fmac_f32 v11, 0xbe3c28d5, v83 :: v_dual_add_f32 v148, v152, v148
	v_fmamk_f32 v161, v81, 0xbf2c7751, v141
	v_fmamk_f32 v159, v72, 0xbf7ee86f, v157
	v_dual_fmamk_f32 v165, v25, 0xbf1a4643, v126 :: v_dual_add_f32 v146, v150, v146
	v_fmamk_f32 v150, v26, 0x3f3d2fb0, v10
	v_dual_fmamk_f32 v6, v72, 0x3f763a35, v12 :: v_dual_add_f32 v143, v153, v143
	;; [unrolled: 2-line block ×3, first 2 shown]
	v_dual_fmac_f32 v155, 0xbf763a35, v81 :: v_dual_add_f32 v144, v166, v144
	v_dual_fmac_f32 v157, 0x3f7ee86f, v72 :: v_dual_add_f32 v0, v164, v9
	v_fma_f32 v142, 0xbf7ba420, v27, -v142
	v_add_f32_e32 v9, v168, v160
	v_dual_fmamk_f32 v151, v25, 0xbe8c1d8e, v13 :: v_dual_add_f32 v4, v8, v4
	v_fmamk_f32 v8, v26, 0xbe8c1d8e, v156
	v_add_f32_e32 v11, v162, v147
	v_add_f32_e32 v147, v161, v3
	;; [unrolled: 1-line block ×3, first 2 shown]
	v_dual_fmac_f32 v141, 0x3f2c7751, v81 :: v_dual_add_f32 v148, v150, v148
	v_fma_f32 v156, 0xbe8c1d8e, v26, -v156
	v_dual_add_f32 v146, v2, v1 :: v_dual_add_f32 v1, v171, v0
	s_delay_alu instid0(VALU_DEP_4)
	v_dual_add_f32 v8, v8, v5 :: v_dual_add_f32 v5, v163, v7
	v_dual_add_f32 v143, v155, v143 :: v_dual_add_f32 v0, v169, v9
	v_add_f32_e32 v7, v6, v147
	v_dual_add_f32 v142, v142, v172 :: v_dual_add_f32 v147, v141, v154
	v_mul_f32_e32 v141, 0xbf4c4adb, v90
	v_fma_f32 v158, 0x3dbcf732, v25, -v158
	v_dual_add_f32 v150, v152, v4 :: v_dual_add_f32 v3, v170, v11
	v_dual_add_f32 v145, v156, v145 :: v_dual_add_f32 v2, v149, v144
	v_add_f32_e32 v4, v165, v146
	v_dual_add_f32 v6, v151, v148 :: v_dual_add_f32 v11, v157, v143
	v_fma_f32 v143, 0x3f3d2fb0, v26, -v10
	v_mul_f32_e32 v151, 0xbeb8f4ab, v93
	v_fma_f32 v152, 0xbe8c1d8e, v25, -v13
	v_fma_f32 v13, 0xbf1a4643, v51, -v141
	v_dual_add_f32 v9, v159, v150 :: v_dual_add_f32 v8, v153, v8
	v_dual_add_f32 v10, v158, v145 :: v_dual_mul_f32 v149, 0x3f763a35, v94
	s_delay_alu instid0(VALU_DEP_3) | instskip(SKIP_2) | instid1(VALU_DEP_3)
	v_dual_fmamk_f32 v144, v50, 0xbf1a4643, v127 :: v_dual_add_f32 v13, v40, v13
	v_add_f32_e32 v150, v143, v142
	v_fmamk_f32 v145, v23, 0x3f6eb680, v151
	v_dual_mul_f32 v142, 0x3f763a35, v89 :: v_dual_add_f32 v143, v41, v144
	v_mul_f32_e32 v153, 0xbf06c442, v92
	v_mul_f32_e32 v154, 0x3f7ee86f, v91
	v_fma_f32 v140, 0xbe8c1d8e, v51, -v140
	s_delay_alu instid0(VALU_DEP_4) | instskip(SKIP_3) | instid1(VALU_DEP_4)
	v_fma_f32 v146, 0xbe8c1d8e, v31, -v142
	v_fmac_f32_e32 v12, 0xbf763a35, v72
	v_fmac_f32_e32 v15, 0x3f06c442, v94
	v_fma_f32 v137, 0xbf59a7d5, v31, -v137
	v_dual_add_f32 v140, v40, v140 :: v_dual_add_f32 v13, v146, v13
	v_fmamk_f32 v144, v24, 0xbe8c1d8e, v149
	v_fmac_f32_e32 v128, 0xbf763a35, v95
	v_fma_f32 v138, 0x3f3d2fb0, v30, -v138
	s_delay_alu instid0(VALU_DEP_4) | instskip(SKIP_3) | instid1(VALU_DEP_4)
	v_add_f32_e32 v137, v137, v140
	v_fmac_f32_e32 v132, 0xbf65296c, v92
	v_add_f32_e32 v144, v144, v143
	v_add_f32_e32 v128, v41, v128
	v_dual_fmac_f32 v122, 0xbf65296c, v91 :: v_dual_add_f32 v137, v138, v137
	v_fma_f32 v138, 0x3ee437d1, v29, -v139
	s_delay_alu instid0(VALU_DEP_4)
	v_dual_add_f32 v145, v145, v144 :: v_dual_mul_f32 v144, 0xbf06c442, v87
	v_fmamk_f32 v148, v22, 0xbf59a7d5, v153
	v_mul_f32_e32 v143, 0xbeb8f4ab, v88
	v_fmac_f32_e32 v131, 0xbe3c28d5, v91
	v_fmac_f32_e32 v136, 0x3f2c7751, v93
	;; [unrolled: 1-line block ×3, first 2 shown]
	v_add_f32_e32 v148, v148, v145
	v_fma_f32 v146, 0x3f6eb680, v30, -v143
	v_mul_f32_e32 v145, 0x3f7ee86f, v86
	v_fma_f32 v135, 0xbf7ba420, v28, -v135
	v_fmac_f32_e32 v129, 0xbeb8f4ab, v81
	v_fma_f32 v17, 0x3dbcf732, v51, -v17
	v_add_f32_e32 v13, v146, v13
	v_fma_f32 v146, 0xbf59a7d5, v29, -v144
	v_fma_f32 v159, 0x3dbcf732, v28, -v145
	v_fmac_f32_e32 v125, 0xbf4c4adb, v72
	v_fmac_f32_e32 v14, 0xbe3c28d5, v94
	s_delay_alu instid0(VALU_DEP_4)
	v_dual_fmac_f32 v123, 0xbf06c442, v83 :: v_dual_add_f32 v158, v146, v13
	v_mul_f32_e32 v146, 0xbf2c7751, v85
	v_fmamk_f32 v155, v21, 0x3dbcf732, v154
	v_add_f32_e32 v13, v12, v147
	v_dual_add_f32 v12, v152, v150 :: v_dual_mul_f32 v147, 0xbe3c28d5, v84
	v_add_f32_e32 v158, v159, v158
	s_delay_alu instid0(VALU_DEP_4) | instskip(SKIP_3) | instid1(VALU_DEP_4)
	v_dual_mul_f32 v156, 0xbf2c7751, v83 :: v_dual_add_f32 v155, v155, v148
	v_fma_f32 v159, 0x3f3d2fb0, v27, -v146
	v_add_f32_e32 v120, v41, v120
	v_fma_f32 v134, 0x3dbcf732, v27, -v134
	v_fmamk_f32 v157, v20, 0x3f3d2fb0, v156
	v_fma_f32 v119, 0xbe8c1d8e, v30, -v119
	v_add_f32_e32 v152, v159, v158
	v_mul_f32_e32 v148, 0xbe3c28d5, v81
	s_delay_alu instid0(VALU_DEP_4) | instskip(SKIP_2) | instid1(VALU_DEP_3)
	v_dual_add_f32 v158, v15, v128 :: v_dual_add_f32 v155, v157, v155
	v_fmac_f32_e32 v130, 0x3f7ee86f, v83
	v_dual_add_f32 v14, v14, v120 :: v_dual_fmac_f32 v103, 0xbf4c4adb, v94
	v_dual_fmamk_f32 v157, v19, 0xbf7ba420, v148 :: v_dual_add_f32 v136, v136, v158
	v_fmac_f32_e32 v106, 0xbf65296c, v95
	v_fma_f32 v111, 0x3ee437d1, v51, -v111
	v_fmac_f32_e32 v124, 0x3f763a35, v93
	v_fmac_f32_e32 v121, 0x3eb8f4ab, v92
	v_add_f32_e32 v132, v132, v136
	v_add_f32_e32 v136, v138, v137
	v_fmac_f32_e32 v113, 0x3f4c4adb, v81
	v_fma_f32 v115, 0x3f6eb680, v29, -v115
	v_add_f32_e32 v111, v40, v111
	v_add_f32_e32 v131, v131, v132
	;; [unrolled: 1-line block ×3, first 2 shown]
	v_dual_add_f32 v124, v124, v14 :: v_dual_fmac_f32 v99, 0x3f2c7751, v91
	v_fmac_f32_e32 v98, 0xbeb8f4ab, v83
	s_delay_alu instid0(VALU_DEP_4) | instskip(NEXT) | instid1(VALU_DEP_4)
	v_add_f32_e32 v120, v130, v131
	v_add_f32_e32 v130, v134, v132
	v_fma_f32 v131, 0x3f6eb680, v26, -v133
	v_add_f32_e32 v106, v41, v106
	v_dual_add_f32 v150, v157, v155 :: v_dual_mul_f32 v157, 0x3f65296c, v72
	v_fma_f32 v155, 0xbf7ba420, v26, -v147
	v_dual_mul_f32 v128, 0x3f65296c, v82 :: v_dual_add_f32 v121, v121, v124
	s_delay_alu instid0(VALU_DEP_4)
	v_dual_add_f32 v120, v129, v120 :: v_dual_add_f32 v103, v103, v106
	v_add_f32_e32 v129, v131, v130
	v_fma_f32 v124, 0xbf1a4643, v25, -v126
	v_add_f32_e32 v126, v40, v17
	v_fma_f32 v130, 0xbf7ba420, v31, -v16
	v_fma_f32 v110, 0xbf1a4643, v31, -v110
	v_fmac_f32_e32 v112, 0x3f2c7751, v72
	v_fmac_f32_e32 v102, 0x3e3c28d5, v93
	v_dual_add_f32 v152, v155, v152 :: v_dual_fmamk_f32 v155, v18, 0x3ee437d1, v157
	v_fma_f32 v139, 0x3ee437d1, v25, -v128
	v_dual_add_f32 v17, v125, v120 :: v_dual_add_f32 v120, v130, v126
	v_dual_fmac_f32 v97, 0xbf7ee86f, v81 :: v_dual_add_f32 v106, v110, v111
	v_fma_f32 v109, 0xbf7ba420, v30, -v109
	v_add_f32_e32 v102, v102, v103
	v_fmac_f32_e32 v100, 0x3f763a35, v92
	v_add_f32_e32 v14, v139, v152
	v_add_f32_e32 v119, v119, v120
	;; [unrolled: 1-line block ×3, first 2 shown]
	v_fma_f32 v106, 0xbe8c1d8e, v29, -v108
	v_add_f32_e32 v100, v100, v102
	s_delay_alu instid0(VALU_DEP_4) | instskip(SKIP_1) | instid1(VALU_DEP_4)
	v_dual_add_f32 v16, v124, v129 :: v_dual_add_f32 v115, v115, v119
	v_fma_f32 v116, 0x3ee437d1, v28, -v116
	v_add_f32_e32 v102, v106, v103
	v_fma_f32 v103, 0x3f3d2fb0, v28, -v107
	v_add_f32_e32 v99, v99, v100
	v_fma_f32 v111, 0xbf59a7d5, v27, -v117
	v_dual_add_f32 v110, v116, v115 :: v_dual_mul_f32 v115, 0x3f06c442, v86
	s_delay_alu instid0(VALU_DEP_4)
	v_add_f32_e32 v100, v103, v102
	v_fma_f32 v102, 0x3f6eb680, v27, -v105
	v_add_f32_e32 v105, v98, v99
	v_fma_f32 v109, 0xbf1a4643, v26, -v118
	v_fmac_f32_e32 v96, 0xbf06c442, v72
	v_fma_f32 v103, 0x3f3d2fb0, v25, -v114
	v_dual_mul_f32 v114, 0x3f763a35, v83 :: v_dual_add_f32 v57, v41, v57
	v_add_f32_e32 v97, v97, v105
	v_mul_f32_e32 v105, 0xbf2c7751, v90
	v_dual_add_f32 v108, v111, v110 :: v_dual_mul_f32 v111, 0xbf4c4adb, v88
	s_delay_alu instid0(VALU_DEP_3) | instskip(NEXT) | instid1(VALU_DEP_3)
	v_dual_add_f32 v57, v57, v59 :: v_dual_add_f32 v96, v96, v97
	v_fma_f32 v97, 0x3f3d2fb0, v51, -v105
	s_delay_alu instid0(VALU_DEP_3)
	v_add_f32_e32 v107, v109, v108
	v_add_f32_e32 v121, v122, v121
	v_mul_f32_e32 v108, 0xbf7ee86f, v89
	v_mul_f32_e32 v117, 0x3f763a35, v85
	v_add_f32_e32 v97, v40, v97
	v_fma_f32 v101, 0xbf59a7d5, v25, -v101
	v_add_f32_e32 v121, v123, v121
	v_fma_f32 v110, 0x3dbcf732, v31, -v108
	v_mul_f32_e32 v118, 0xbeb8f4ab, v95
	v_mul_f32_e32 v109, 0xbe3c28d5, v92
	;; [unrolled: 1-line block ×3, first 2 shown]
	v_dual_add_f32 v106, v113, v121 :: v_dual_mul_f32 v113, 0xbe3c28d5, v87
	v_add_f32_e32 v97, v110, v97
	v_fma_f32 v110, 0xbf1a4643, v30, -v111
	v_mul_f32_e32 v89, 0xbf2c7751, v89
	v_add_f32_e32 v59, v40, v80
	v_dual_add_f32 v57, v57, v58 :: v_dual_mul_f32 v116, 0x3f65296c, v81
	s_delay_alu instid0(VALU_DEP_4) | instskip(SKIP_4) | instid1(VALU_DEP_4)
	v_add_f32_e32 v97, v110, v97
	v_fma_f32 v110, 0xbf7ba420, v29, -v113
	v_add_f32_e32 v100, v102, v100
	v_fma_f32 v102, 0x3dbcf732, v26, -v104
	v_add_f32_e32 v57, v57, v60
	v_dual_add_f32 v58, v59, v76 :: v_dual_add_f32 v97, v110, v97
	v_fma_f32 v110, 0xbf59a7d5, v28, -v115
	v_mul_f32_e32 v104, 0xbf2c7751, v95
	v_add_f32_e32 v100, v102, v100
	v_dual_add_f32 v98, v103, v107 :: v_dual_mul_f32 v103, 0xbf7ee86f, v94
	s_delay_alu instid0(VALU_DEP_4) | instskip(SKIP_1) | instid1(VALU_DEP_4)
	v_add_f32_e32 v97, v110, v97
	v_fma_f32 v110, 0xbe8c1d8e, v27, -v117
	v_add_f32_e32 v95, v101, v100
	v_fmamk_f32 v101, v50, 0x3f6eb680, v118
	v_mul_f32_e32 v94, 0xbf2c7751, v94
	v_add_f32_e32 v99, v112, v106
	v_add_f32_e32 v97, v110, v97
	s_delay_alu instid0(VALU_DEP_4) | instskip(NEXT) | instid1(VALU_DEP_4)
	v_dual_fmamk_f32 v102, v50, 0x3f3d2fb0, v104 :: v_dual_add_f32 v101, v41, v101
	v_fmamk_f32 v110, v24, 0x3f3d2fb0, v94
	v_fmamk_f32 v106, v24, 0x3dbcf732, v103
	s_delay_alu instid0(VALU_DEP_3) | instskip(SKIP_1) | instid1(VALU_DEP_4)
	v_dual_mul_f32 v107, 0xbf4c4adb, v93 :: v_dual_add_f32 v102, v41, v102
	v_mul_f32_e32 v93, 0xbf65296c, v93
	v_add_f32_e32 v101, v110, v101
	v_dual_add_f32 v57, v57, v61 :: v_dual_add_f32 v58, v58, v79
	s_delay_alu instid0(VALU_DEP_4) | instskip(NEXT) | instid1(VALU_DEP_4)
	v_add_f32_e32 v102, v106, v102
	v_fmamk_f32 v110, v23, 0x3ee437d1, v93
	s_delay_alu instid0(VALU_DEP_3) | instskip(NEXT) | instid1(VALU_DEP_4)
	v_dual_fmamk_f32 v106, v23, 0xbf1a4643, v107 :: v_dual_add_f32 v57, v57, v64
	v_dual_mul_f32 v59, 0xbf65296c, v88 :: v_dual_add_f32 v58, v58, v78
	v_fmac_f32_e32 v141, 0xbf1a4643, v51
	s_delay_alu instid0(VALU_DEP_4) | instskip(NEXT) | instid1(VALU_DEP_4)
	v_add_f32_e32 v101, v110, v101
	v_add_f32_e32 v102, v106, v102
	v_fmamk_f32 v106, v22, 0xbf7ba420, v109
	v_fmamk_f32 v110, v22, 0x3dbcf732, v122
	v_dual_mul_f32 v112, 0x3f06c442, v91 :: v_dual_add_f32 v57, v57, v65
	v_dual_add_f32 v58, v58, v77 :: v_dual_fmac_f32 v143, 0x3f6eb680, v30
	s_delay_alu instid0(VALU_DEP_4) | instskip(NEXT) | instid1(VALU_DEP_3)
	v_add_f32_e32 v102, v106, v102
	v_fmamk_f32 v106, v21, 0xbf59a7d5, v112
	s_delay_alu instid0(VALU_DEP_3) | instskip(SKIP_2) | instid1(VALU_DEP_4)
	v_dual_add_f32 v57, v57, v68 :: v_dual_add_f32 v58, v58, v75
	v_fmac_f32_e32 v145, 0x3dbcf732, v28
	v_fmac_f32_e32 v147, 0xbf7ba420, v26
	v_add_f32_e32 v102, v106, v102
	s_delay_alu instid0(VALU_DEP_4) | instskip(SKIP_2) | instid1(VALU_DEP_3)
	v_dual_fmamk_f32 v106, v20, 0xbe8c1d8e, v114 :: v_dual_add_f32 v57, v57, v67
	v_dual_add_f32 v58, v58, v74 :: v_dual_fmac_f32 v105, 0x3f3d2fb0, v51
	v_mul_f32_e32 v121, 0x3eb8f4ab, v82
	v_add_f32_e32 v102, v106, v102
	s_delay_alu instid0(VALU_DEP_4) | instskip(NEXT) | instid1(VALU_DEP_4)
	v_dual_fmamk_f32 v106, v19, 0x3ee437d1, v116 :: v_dual_add_f32 v57, v57, v63
	v_add_f32_e32 v58, v58, v73
	v_fma_f32 v63, 0xbf1a4643, v50, -v127
	s_delay_alu instid0(VALU_DEP_3)
	v_dual_fmac_f32 v113, 0xbf7ba420, v29 :: v_dual_add_f32 v100, v106, v102
	v_mul_f32_e32 v79, 0xbf7ee86f, v87
	v_mul_f32_e32 v102, 0x3f65296c, v84
	;; [unrolled: 1-line block ×3, first 2 shown]
	v_add_f32_e32 v56, v57, v56
	v_dual_add_f32 v58, v58, v71 :: v_dual_mul_f32 v65, 0xbf4c4adb, v85
	s_delay_alu instid0(VALU_DEP_4) | instskip(NEXT) | instid1(VALU_DEP_4)
	v_fma_f32 v119, 0x3ee437d1, v26, -v102
	v_fmamk_f32 v120, v18, 0x3f6eb680, v106
	s_delay_alu instid0(VALU_DEP_4) | instskip(NEXT) | instid1(VALU_DEP_4)
	v_add_f32_e32 v54, v56, v54
	v_dual_add_f32 v57, v58, v70 :: v_dual_add_f32 v58, v41, v63
	s_delay_alu instid0(VALU_DEP_3) | instskip(NEXT) | instid1(VALU_DEP_3)
	v_dual_add_f32 v97, v119, v97 :: v_dual_add_f32 v92, v120, v100
	v_add_f32_e32 v49, v54, v49
	v_fma_f32 v100, 0x3f6eb680, v25, -v121
	v_mul_f32_e32 v119, 0xbf763a35, v91
	v_fma_f32 v63, 0xbe8c1d8e, v24, -v149
	v_dual_add_f32 v56, v57, v69 :: v_dual_fmac_f32 v115, 0xbf59a7d5, v28
	s_delay_alu instid0(VALU_DEP_4) | instskip(SKIP_3) | instid1(VALU_DEP_4)
	v_dual_add_f32 v48, v49, v48 :: v_dual_add_f32 v91, v100, v97
	v_mul_f32_e32 v76, 0xbf4c4adb, v83
	v_fma_f32 v60, 0x3ee437d1, v30, -v59
	v_fma_f32 v61, 0x3dbcf732, v29, -v79
	v_add_f32_e32 v47, v48, v47
	v_add_f32_e32 v97, v110, v101
	v_fmac_f32_e32 v59, 0x3ee437d1, v30
	v_dual_add_f32 v58, v63, v58 :: v_dual_fmac_f32 v79, 0x3dbcf732, v29
	v_add_f32_e32 v54, v56, v66
	v_fmamk_f32 v100, v21, 0xbe8c1d8e, v119
	v_fmamk_f32 v87, v20, 0xbf1a4643, v76
	v_mul_f32_e32 v75, 0xbf06c442, v81
	s_delay_alu instid0(VALU_DEP_4) | instskip(NEXT) | instid1(VALU_DEP_4)
	v_dual_fmac_f32 v108, 0x3dbcf732, v31 :: v_dual_add_f32 v49, v54, v62
	v_add_f32_e32 v80, v100, v97
	v_mul_f32_e32 v78, 0xbf763a35, v86
	s_delay_alu instid0(VALU_DEP_4) | instskip(SKIP_1) | instid1(VALU_DEP_4)
	v_fmamk_f32 v74, v19, 0xbf59a7d5, v75
	v_fma_f32 v100, 0x3f3d2fb0, v31, -v89
	v_dual_add_f32 v49, v49, v55 :: v_dual_add_f32 v64, v87, v80
	v_mul_f32_e32 v67, 0xbe3c28d5, v82
	v_fma_f32 v63, 0x3f6eb680, v23, -v151
	s_delay_alu instid0(VALU_DEP_3) | instskip(NEXT) | instid1(VALU_DEP_4)
	v_dual_mul_f32 v68, 0xbf06c442, v84 :: v_dual_add_f32 v49, v49, v53
	v_add_f32_e32 v64, v74, v64
	v_mul_f32_e32 v90, 0xbeb8f4ab, v90
	s_delay_alu instid0(VALU_DEP_4) | instskip(SKIP_2) | instid1(VALU_DEP_4)
	v_dual_add_f32 v58, v63, v58 :: v_dual_fmac_f32 v117, 0xbe8c1d8e, v27
	v_fma_f32 v63, 0xbf59a7d5, v22, -v153
	v_add_f32_e32 v47, v47, v46
	v_fma_f32 v101, 0x3f6eb680, v51, -v90
	v_fmac_f32_e32 v89, 0x3f3d2fb0, v31
	s_delay_alu instid0(VALU_DEP_4) | instskip(SKIP_1) | instid1(VALU_DEP_4)
	v_dual_fmac_f32 v121, 0x3f6eb680, v25 :: v_dual_add_f32 v54, v63, v58
	v_fma_f32 v58, 0x3f3d2fb0, v50, -v104
	v_add_f32_e32 v97, v40, v101
	v_fmac_f32_e32 v111, 0xbf1a4643, v30
	v_fmac_f32_e32 v144, 0xbf59a7d5, v29
	;; [unrolled: 1-line block ×3, first 2 shown]
	s_delay_alu instid0(VALU_DEP_4)
	v_dual_add_f32 v48, v41, v58 :: v_dual_add_f32 v83, v100, v97
	v_fma_f32 v58, 0x3dbcf732, v24, -v103
	v_fma_f32 v24, 0x3f3d2fb0, v24, -v94
	v_fmac_f32_e32 v102, 0x3ee437d1, v26
	v_fmac_f32_e32 v128, 0x3ee437d1, v25
	v_add_f32_e32 v60, v60, v83
	v_add_f32_e32 v48, v58, v48
	v_fma_f32 v58, 0xbf1a4643, v23, -v107
	v_fma_f32 v23, 0x3ee437d1, v23, -v93
	s_delay_alu instid0(VALU_DEP_4) | instskip(SKIP_1) | instid1(VALU_DEP_4)
	v_dual_add_f32 v15, v155, v150 :: v_dual_add_f32 v60, v61, v60
	v_fma_f32 v61, 0xbe8c1d8e, v28, -v78
	v_add_f32_e32 v48, v58, v48
	v_fma_f32 v58, 0xbf7ba420, v22, -v109
	v_fma_f32 v22, 0x3dbcf732, v22, -v122
	v_fmac_f32_e32 v78, 0xbe8c1d8e, v28
	v_add_f32_e32 v60, v61, v60
	v_fma_f32 v61, 0xbf1a4643, v27, -v65
	v_fmac_f32_e32 v65, 0xbf1a4643, v27
	v_fmac_f32_e32 v142, 0xbe8c1d8e, v31
	v_add_f32_e32 v48, v58, v48
	v_fma_f32 v58, 0xbf59a7d5, v21, -v112
	v_add_f32_e32 v60, v61, v60
	v_fma_f32 v61, 0xbf59a7d5, v26, -v68
	s_delay_alu instid0(VALU_DEP_3) | instskip(NEXT) | instid1(VALU_DEP_2)
	v_add_f32_e32 v48, v58, v48
	v_add_f32_e32 v60, v61, v60
	v_mul_f32_e32 v61, 0xbe3c28d5, v72
	s_delay_alu instid0(VALU_DEP_1) | instskip(NEXT) | instid1(VALU_DEP_1)
	v_fmamk_f32 v70, v18, 0xbf7ba420, v61
	v_dual_add_f32 v57, v70, v64 :: v_dual_fmac_f32 v90, 0x3f6eb680, v51
	v_add_f32_e32 v51, v40, v105
	v_fma_f32 v64, 0xbf7ba420, v25, -v67
	v_fmac_f32_e32 v67, 0xbf7ba420, v25
	s_delay_alu instid0(VALU_DEP_3) | instskip(NEXT) | instid1(VALU_DEP_1)
	v_add_f32_e32 v31, v108, v51
	v_add_f32_e32 v30, v111, v31
	s_delay_alu instid0(VALU_DEP_4)
	v_add_f32_e32 v56, v64, v60
	v_fma_f32 v60, 0x3dbcf732, v21, -v154
	v_fma_f32 v21, 0xbe8c1d8e, v21, -v119
	v_add_f32_e32 v62, v40, v141
	v_add_f32_e32 v40, v40, v90
	;; [unrolled: 1-line block ×4, first 2 shown]
	s_delay_alu instid0(VALU_DEP_4) | instskip(SKIP_2) | instid1(VALU_DEP_2)
	v_add_f32_e32 v60, v142, v62
	v_fma_f32 v62, 0x3f3d2fb0, v20, -v156
	v_add_f32_e32 v40, v89, v40
	v_dual_add_f32 v55, v143, v60 :: v_dual_add_f32 v54, v62, v54
	s_delay_alu instid0(VALU_DEP_1) | instskip(SKIP_1) | instid1(VALU_DEP_2)
	v_add_f32_e32 v46, v144, v55
	v_fma_f32 v55, 0xbf7ba420, v19, -v148
	v_add_f32_e32 v46, v145, v46
	s_delay_alu instid0(VALU_DEP_2)
	v_add_f32_e32 v53, v55, v54
	v_fma_f32 v54, 0xbe8c1d8e, v20, -v114
	v_fma_f32 v20, 0xbf1a4643, v20, -v76
	;; [unrolled: 1-line block ×3, first 2 shown]
	v_add_f32_e32 v58, v146, v46
	v_add_f32_e32 v46, v49, v52
	;; [unrolled: 1-line block ×3, first 2 shown]
	v_fma_f32 v52, 0x3ee437d1, v19, -v116
	v_fma_f32 v19, 0xbf59a7d5, v19, -v75
	v_add_f32_e32 v49, v55, v53
	v_add_f32_e32 v53, v147, v58
	v_fmac_f32_e32 v68, 0xbf59a7d5, v26
	v_add_f32_e32 v52, v52, v48
	v_fma_f32 v48, 0x3f6eb680, v50, -v118
	v_fma_f32 v50, 0x3f6eb680, v18, -v106
	ds_store_b64 v42, v[46:47]
	ds_store_2addr_b64 v33, v[56:57], v[91:92] offset0:52 offset1:104
	ds_store_2addr_b64 v33, v[95:96], v[98:99] offset0:156 offset1:208
	v_dual_add_f32 v41, v41, v48 :: v_dual_add_f32 v48, v128, v53
	s_delay_alu instid0(VALU_DEP_1) | instskip(NEXT) | instid1(VALU_DEP_1)
	v_add_f32_e32 v24, v24, v41
	v_add_f32_e32 v23, v23, v24
	;; [unrolled: 1-line block ×3, first 2 shown]
	s_delay_alu instid0(VALU_DEP_1) | instskip(NEXT) | instid1(VALU_DEP_1)
	v_dual_add_f32 v22, v22, v23 :: v_dual_add_f32 v23, v79, v24
	v_dual_add_f32 v24, v115, v29 :: v_dual_add_f32 v21, v21, v22
	s_delay_alu instid0(VALU_DEP_1) | instskip(NEXT) | instid1(VALU_DEP_1)
	v_dual_add_f32 v22, v78, v23 :: v_dual_add_f32 v23, v117, v24
	v_dual_add_f32 v20, v20, v21 :: v_dual_add_f32 v21, v65, v22
	s_delay_alu instid0(VALU_DEP_2) | instskip(SKIP_1) | instid1(VALU_DEP_3)
	v_add_f32_e32 v22, v102, v23
	v_fma_f32 v23, 0xbf7ba420, v18, -v61
	v_add_f32_e32 v20, v19, v20
	s_delay_alu instid0(VALU_DEP_4) | instskip(NEXT) | instid1(VALU_DEP_4)
	v_add_f32_e32 v24, v68, v21
	v_add_f32_e32 v18, v121, v22
	v_dual_add_f32 v19, v50, v52 :: v_dual_add_nc_u32 v22, 0x800, v33
	s_delay_alu instid0(VALU_DEP_4) | instskip(NEXT) | instid1(VALU_DEP_4)
	v_add_f32_e32 v21, v23, v20
	v_dual_add_f32 v20, v67, v24 :: v_dual_add_nc_u32 v23, 0xc00, v33
	v_add_nc_u32_e32 v24, 0x1000, v33
	ds_store_2addr_b64 v22, v[16:17], v[14:15] offset0:4 offset1:56
	v_add_nc_u32_e32 v14, 0x1800, v33
	ds_store_2addr_b64 v22, v[12:13], v[10:11] offset0:108 offset1:160
	ds_store_2addr_b64 v23, v[8:9], v[6:7] offset0:84 offset1:136
	;; [unrolled: 1-line block ×5, first 2 shown]
.LBB0_20:
	s_wait_alu 0xfffe
	s_or_b32 exec_lo, exec_lo, s1
	global_wb scope:SCOPE_SE
	s_wait_dscnt 0x0
	s_barrier_signal -1
	s_barrier_wait -1
	global_inv scope:SCOPE_SE
	ds_load_b64 v[4:5], v42
	v_sub_nc_u32_e32 v6, v43, v38
	s_mov_b32 s1, exec_lo
                                        ; implicit-def: $vgpr3
                                        ; implicit-def: $vgpr7
                                        ; implicit-def: $vgpr0_vgpr1
	v_cmpx_ne_u32_e32 0, v32
	s_wait_alu 0xfffe
	s_xor_b32 s1, exec_lo, s1
	s_cbranch_execz .LBB0_22
; %bb.21:
	ds_load_b64 v[2:3], v6 offset:7072
	s_wait_dscnt 0x0
	v_dual_mov_b32 v33, 0 :: v_dual_add_f32 v8, v3, v5
	s_delay_alu instid0(VALU_DEP_1) | instskip(SKIP_1) | instid1(VALU_DEP_3)
	v_lshlrev_b64_e32 v[0:1], 3, v[32:33]
	v_dual_sub_f32 v7, v4, v2 :: v_dual_add_f32 v2, v2, v4
	v_dual_sub_f32 v3, v5, v3 :: v_dual_mul_f32 v4, 0.5, v8
	s_delay_alu instid0(VALU_DEP_3) | instskip(SKIP_1) | instid1(VALU_DEP_4)
	v_add_co_u32 v0, s0, s4, v0
	s_wait_alu 0xf1ff
	v_add_co_ci_u32_e64 v1, s0, s5, v1, s0
	v_mul_f32_e32 v5, 0.5, v7
	v_mul_f32_e32 v3, 0.5, v3
	global_load_b64 v[0:1], v[0:1], off offset:6968
	s_wait_loadcnt 0x0
	v_mul_f32_e32 v7, v1, v5
	v_fma_f32 v8, v4, v1, v3
	v_fma_f32 v1, v4, v1, -v3
	s_delay_alu instid0(VALU_DEP_3) | instskip(SKIP_1) | instid1(VALU_DEP_4)
	v_fma_f32 v9, 0.5, v2, v7
	v_fma_f32 v2, v2, 0.5, -v7
	v_fma_f32 v7, -v0, v5, v8
	s_delay_alu instid0(VALU_DEP_4) | instskip(NEXT) | instid1(VALU_DEP_4)
	v_fma_f32 v3, -v0, v5, v1
	v_fmac_f32_e32 v9, v0, v4
	s_delay_alu instid0(VALU_DEP_4)
	v_fma_f32 v2, -v0, v4, v2
	v_dual_mov_b32 v0, v32 :: v_dual_mov_b32 v1, v33
                                        ; implicit-def: $vgpr4_vgpr5
	ds_store_b32 v42, v9
.LBB0_22:
	s_wait_alu 0xfffe
	s_and_not1_saveexec_b32 s0, s1
	s_cbranch_execz .LBB0_24
; %bb.23:
	ds_load_b32 v0, v43 offset:3540
	s_wait_dscnt 0x1
	v_dual_mov_b32 v7, 0 :: v_dual_add_f32 v8, v4, v5
	s_delay_alu instid0(VALU_DEP_1)
	v_dual_sub_f32 v2, v4, v5 :: v_dual_mov_b32 v3, v7
	s_wait_dscnt 0x0
	v_xor_b32_e32 v4, 0x80000000, v0
	v_mov_b32_e32 v0, 0
	v_mov_b32_e32 v1, 0
	ds_store_b32 v42, v8
	ds_store_b32 v43, v4 offset:3540
.LBB0_24:
	s_wait_alu 0xfffe
	s_or_b32 exec_lo, exec_lo, s0
	v_mov_b32_e32 v38, 0
	v_lshlrev_b64_e32 v[0:1], 3, v[0:1]
	s_wait_dscnt 0x0
	s_delay_alu instid0(VALU_DEP_2) | instskip(SKIP_1) | instid1(VALU_DEP_2)
	v_lshlrev_b64_e32 v[4:5], 3, v[37:38]
	v_dual_mov_b32 v40, v38 :: v_dual_mov_b32 v37, v38
	v_add_co_u32 v4, s0, s4, v4
	s_wait_alu 0xf1ff
	s_delay_alu instid0(VALU_DEP_3) | instskip(SKIP_2) | instid1(VALU_DEP_1)
	v_add_co_ci_u32_e64 v5, s0, s5, v5, s0
	global_load_b64 v[8:9], v[4:5], off offset:6968
	v_lshlrev_b64_e32 v[4:5], 3, v[39:40]
	v_add_co_u32 v4, s0, s4, v4
	s_wait_alu 0xf1ff
	s_delay_alu instid0(VALU_DEP_2) | instskip(SKIP_2) | instid1(VALU_DEP_1)
	v_add_co_ci_u32_e64 v5, s0, s5, v5, s0
	global_load_b64 v[10:11], v[4:5], off offset:6968
	v_lshlrev_b64_e32 v[4:5], 3, v[36:37]
	v_add_co_u32 v4, s0, s4, v4
	s_wait_alu 0xf1ff
	s_delay_alu instid0(VALU_DEP_2)
	v_add_co_ci_u32_e64 v5, s0, s5, v5, s0
	s_add_nc_u64 s[0:1], s[4:5], 0x1b38
	global_load_b64 v[12:13], v[4:5], off offset:6968
	s_wait_alu 0xfffe
	v_add_co_u32 v4, s0, s0, v0
	s_wait_alu 0xf1ff
	v_add_co_ci_u32_e64 v5, s0, s1, v1, s0
	s_clause 0x1
	global_load_b64 v[14:15], v[4:5], off offset:2176
	global_load_b64 v[16:17], v[4:5], off offset:2720
	ds_store_b32 v42, v7 offset:4
	ds_store_b64 v6, v[2:3] offset:7072
	ds_load_b64 v[2:3], v45
	ds_load_b64 v[18:19], v6 offset:6528
	s_mov_b32 s1, exec_lo
	s_wait_dscnt 0x0
	v_dual_sub_f32 v7, v2, v18 :: v_dual_add_f32 v20, v3, v19
	v_dual_sub_f32 v3, v3, v19 :: v_dual_add_f32 v18, v2, v18
	s_delay_alu instid0(VALU_DEP_2) | instskip(NEXT) | instid1(VALU_DEP_3)
	v_mul_f32_e32 v7, 0.5, v7
	v_mul_f32_e32 v19, 0.5, v20
	s_delay_alu instid0(VALU_DEP_3) | instskip(SKIP_1) | instid1(VALU_DEP_3)
	v_mul_f32_e32 v3, 0.5, v3
	s_wait_loadcnt 0x4
	v_mul_f32_e32 v20, v9, v7
	s_delay_alu instid0(VALU_DEP_2) | instskip(SKIP_1) | instid1(VALU_DEP_3)
	v_fma_f32 v21, v19, v9, v3
	v_fma_f32 v9, v19, v9, -v3
	v_fma_f32 v2, 0.5, v18, v20
	v_fma_f32 v18, v18, 0.5, -v20
	s_delay_alu instid0(VALU_DEP_4) | instskip(NEXT) | instid1(VALU_DEP_4)
	v_fma_f32 v3, -v8, v7, v21
	v_fma_f32 v9, -v8, v7, v9
	s_delay_alu instid0(VALU_DEP_4) | instskip(NEXT) | instid1(VALU_DEP_4)
	v_fmac_f32_e32 v2, v8, v19
	v_fma_f32 v8, -v8, v19, v18
	ds_store_b64 v45, v[2:3]
	ds_store_b64 v6, v[8:9] offset:6528
	ds_load_b64 v[2:3], v44
	ds_load_b64 v[7:8], v6 offset:5984
	s_wait_dscnt 0x0
	v_dual_sub_f32 v9, v2, v7 :: v_dual_add_f32 v18, v3, v8
	v_sub_f32_e32 v3, v3, v8
	s_delay_alu instid0(VALU_DEP_2) | instskip(SKIP_1) | instid1(VALU_DEP_1)
	v_dual_add_f32 v7, v2, v7 :: v_dual_mul_f32 v8, 0.5, v9
	s_wait_loadcnt 0x3
	v_dual_mul_f32 v9, 0.5, v18 :: v_dual_mul_f32 v18, v11, v8
	s_delay_alu instid0(VALU_DEP_1) | instskip(SKIP_2) | instid1(VALU_DEP_3)
	v_fma_f32 v2, 0.5, v7, v18
	v_mul_f32_e32 v3, 0.5, v3
	v_fma_f32 v7, v7, 0.5, -v18
	v_fmac_f32_e32 v2, v10, v9
	s_delay_alu instid0(VALU_DEP_3) | instskip(SKIP_1) | instid1(VALU_DEP_4)
	v_fma_f32 v19, v9, v11, v3
	v_fma_f32 v11, v9, v11, -v3
	v_fma_f32 v7, -v10, v9, v7
	v_lshl_add_u32 v9, v36, 3, v43
	s_delay_alu instid0(VALU_DEP_4) | instskip(NEXT) | instid1(VALU_DEP_4)
	v_fma_f32 v3, -v10, v8, v19
	v_fma_f32 v8, -v10, v8, v11
	ds_store_b64 v44, v[2:3]
	ds_store_b64 v6, v[7:8] offset:5984
	ds_load_b64 v[2:3], v9
	ds_load_b64 v[7:8], v6 offset:5440
	s_wait_dscnt 0x0
	v_dual_sub_f32 v10, v2, v7 :: v_dual_add_f32 v11, v3, v8
	v_sub_f32_e32 v3, v3, v8
	s_delay_alu instid0(VALU_DEP_2) | instskip(SKIP_1) | instid1(VALU_DEP_1)
	v_dual_add_f32 v7, v2, v7 :: v_dual_mul_f32 v8, 0.5, v10
	s_wait_loadcnt 0x2
	v_dual_mul_f32 v10, 0.5, v11 :: v_dual_mul_f32 v11, v13, v8
	s_delay_alu instid0(VALU_DEP_1) | instskip(SKIP_2) | instid1(VALU_DEP_3)
	v_fma_f32 v2, 0.5, v7, v11
	v_mul_f32_e32 v3, 0.5, v3
	v_fma_f32 v7, v7, 0.5, -v11
	v_fmac_f32_e32 v2, v12, v10
	s_delay_alu instid0(VALU_DEP_3) | instskip(SKIP_1) | instid1(VALU_DEP_4)
	v_fma_f32 v18, v10, v13, v3
	v_fma_f32 v13, v10, v13, -v3
	v_fma_f32 v7, -v12, v10, v7
	s_delay_alu instid0(VALU_DEP_3) | instskip(NEXT) | instid1(VALU_DEP_3)
	v_fma_f32 v3, -v12, v8, v18
	v_fma_f32 v8, -v12, v8, v13
	ds_store_b64 v9, v[2:3]
	ds_store_b64 v6, v[7:8] offset:5440
	ds_load_b64 v[2:3], v42 offset:2176
	ds_load_b64 v[7:8], v6 offset:4896
	s_wait_dscnt 0x0
	v_dual_sub_f32 v9, v2, v7 :: v_dual_add_f32 v10, v3, v8
	v_sub_f32_e32 v3, v3, v8
	s_delay_alu instid0(VALU_DEP_2) | instskip(SKIP_1) | instid1(VALU_DEP_1)
	v_dual_add_f32 v7, v2, v7 :: v_dual_mul_f32 v8, 0.5, v9
	s_wait_loadcnt 0x1
	v_dual_mul_f32 v9, 0.5, v10 :: v_dual_mul_f32 v10, v15, v8
	s_delay_alu instid0(VALU_DEP_1) | instskip(SKIP_1) | instid1(VALU_DEP_2)
	v_fma_f32 v2, 0.5, v7, v10
	v_fma_f32 v7, v7, 0.5, -v10
	v_dual_fmac_f32 v2, v14, v9 :: v_dual_mul_f32 v3, 0.5, v3
	s_delay_alu instid0(VALU_DEP_2) | instskip(NEXT) | instid1(VALU_DEP_2)
	v_fma_f32 v7, -v14, v9, v7
	v_fma_f32 v11, v9, v15, v3
	v_fma_f32 v12, v9, v15, -v3
	s_delay_alu instid0(VALU_DEP_2) | instskip(NEXT) | instid1(VALU_DEP_2)
	v_fma_f32 v3, -v14, v8, v11
	v_fma_f32 v8, -v14, v8, v12
	ds_store_b64 v42, v[2:3] offset:2176
	ds_store_b64 v6, v[7:8] offset:4896
	ds_load_b64 v[2:3], v42 offset:2720
	ds_load_b64 v[7:8], v6 offset:4352
	s_wait_dscnt 0x0
	v_dual_sub_f32 v9, v2, v7 :: v_dual_add_f32 v10, v3, v8
	v_sub_f32_e32 v3, v3, v8
	s_delay_alu instid0(VALU_DEP_2) | instskip(SKIP_1) | instid1(VALU_DEP_1)
	v_dual_add_f32 v7, v2, v7 :: v_dual_mul_f32 v8, 0.5, v9
	s_wait_loadcnt 0x0
	v_dual_mul_f32 v9, 0.5, v10 :: v_dual_mul_f32 v10, v17, v8
	s_delay_alu instid0(VALU_DEP_1) | instskip(SKIP_1) | instid1(VALU_DEP_2)
	v_fma_f32 v2, 0.5, v7, v10
	v_fma_f32 v7, v7, 0.5, -v10
	v_dual_fmac_f32 v2, v16, v9 :: v_dual_mul_f32 v3, 0.5, v3
	s_delay_alu instid0(VALU_DEP_2) | instskip(NEXT) | instid1(VALU_DEP_2)
	v_fma_f32 v7, -v16, v9, v7
	v_fma_f32 v11, v9, v17, v3
	v_fma_f32 v12, v9, v17, -v3
	s_delay_alu instid0(VALU_DEP_2) | instskip(NEXT) | instid1(VALU_DEP_2)
	v_fma_f32 v3, -v16, v8, v11
	v_fma_f32 v8, -v16, v8, v12
	ds_store_b64 v42, v[2:3] offset:2720
	ds_store_b64 v6, v[7:8] offset:4352
	v_cmpx_gt_u32_e32 34, v32
	s_cbranch_execz .LBB0_26
; %bb.25:
	global_load_b64 v[2:3], v[4:5], off offset:3264
	ds_load_b64 v[4:5], v42 offset:3264
	ds_load_b64 v[7:8], v6 offset:3808
	s_wait_dscnt 0x0
	v_dual_sub_f32 v9, v4, v7 :: v_dual_add_f32 v10, v5, v8
	v_dual_sub_f32 v5, v5, v8 :: v_dual_add_f32 v4, v4, v7
	s_delay_alu instid0(VALU_DEP_2) | instskip(NEXT) | instid1(VALU_DEP_2)
	v_dual_mul_f32 v8, 0.5, v9 :: v_dual_mul_f32 v9, 0.5, v10
	v_mul_f32_e32 v5, 0.5, v5
	s_wait_loadcnt 0x0
	s_delay_alu instid0(VALU_DEP_2) | instskip(NEXT) | instid1(VALU_DEP_2)
	v_mul_f32_e32 v7, v3, v8
	v_fma_f32 v10, v9, v3, v5
	v_fma_f32 v5, v9, v3, -v5
	s_delay_alu instid0(VALU_DEP_3) | instskip(SKIP_1) | instid1(VALU_DEP_4)
	v_fma_f32 v3, 0.5, v4, v7
	v_fma_f32 v7, v4, 0.5, -v7
	v_fma_f32 v4, -v2, v8, v10
	s_delay_alu instid0(VALU_DEP_4) | instskip(NEXT) | instid1(VALU_DEP_4)
	v_fma_f32 v8, -v2, v8, v5
	v_fmac_f32_e32 v3, v2, v9
	s_delay_alu instid0(VALU_DEP_4)
	v_fma_f32 v7, -v2, v9, v7
	ds_store_b64 v42, v[3:4] offset:3264
	ds_store_b64 v6, v[7:8] offset:3808
.LBB0_26:
	s_wait_alu 0xfffe
	s_or_b32 exec_lo, exec_lo, s1
	global_wb scope:SCOPE_SE
	s_wait_dscnt 0x0
	s_barrier_signal -1
	s_barrier_wait -1
	global_inv scope:SCOPE_SE
	s_and_saveexec_b32 s0, vcc_lo
	s_cbranch_execz .LBB0_29
; %bb.27:
	v_add_nc_u32_e32 v24, 0x1000, v42
	v_add_nc_u32_e32 v2, 0x800, v42
	ds_load_2addr_b64 v[4:7], v42 offset1:68
	ds_load_2addr_b64 v[8:11], v42 offset0:136 offset1:204
	ds_load_2addr_b64 v[12:15], v2 offset0:16 offset1:84
	;; [unrolled: 1-line block ×5, first 2 shown]
	ds_load_b64 v[28:29], v42 offset:6528
	v_add_co_u32 v2, vcc_lo, s8, v34
	s_wait_alu 0xfffd
	v_add_co_ci_u32_e32 v3, vcc_lo, s9, v35, vcc_lo
	s_delay_alu instid0(VALU_DEP_2) | instskip(SKIP_1) | instid1(VALU_DEP_2)
	v_add_co_u32 v0, vcc_lo, v2, v0
	s_wait_alu 0xfffd
	v_add_co_ci_u32_e32 v1, vcc_lo, v3, v1, vcc_lo
	v_cmp_eq_u32_e32 vcc_lo, 0x43, v32
	s_wait_dscnt 0x6
	s_clause 0x1
	global_store_b64 v[0:1], v[4:5], off
	global_store_b64 v[0:1], v[6:7], off offset:544
	s_wait_dscnt 0x5
	s_clause 0x1
	global_store_b64 v[0:1], v[8:9], off offset:1088
	global_store_b64 v[0:1], v[10:11], off offset:1632
	s_wait_dscnt 0x4
	s_clause 0x1
	global_store_b64 v[0:1], v[12:13], off offset:2176
	;; [unrolled: 4-line block ×5, first 2 shown]
	global_store_b64 v[0:1], v[26:27], off offset:5984
	s_wait_dscnt 0x0
	global_store_b64 v[0:1], v[28:29], off offset:6528
	s_and_b32 exec_lo, exec_lo, vcc_lo
	s_cbranch_execz .LBB0_29
; %bb.28:
	ds_load_b64 v[0:1], v42 offset:6536
	s_wait_dscnt 0x0
	global_store_b64 v[2:3], v[0:1], off offset:7072
.LBB0_29:
	s_nop 0
	s_sendmsg sendmsg(MSG_DEALLOC_VGPRS)
	s_endpgm
	.section	.rodata,"a",@progbits
	.p2align	6, 0x0
	.amdhsa_kernel fft_rtc_fwd_len884_factors_13_4_17_wgs_204_tpt_68_halfLds_sp_ip_CI_unitstride_sbrr_R2C_dirReg
		.amdhsa_group_segment_fixed_size 0
		.amdhsa_private_segment_fixed_size 0
		.amdhsa_kernarg_size 88
		.amdhsa_user_sgpr_count 2
		.amdhsa_user_sgpr_dispatch_ptr 0
		.amdhsa_user_sgpr_queue_ptr 0
		.amdhsa_user_sgpr_kernarg_segment_ptr 1
		.amdhsa_user_sgpr_dispatch_id 0
		.amdhsa_user_sgpr_private_segment_size 0
		.amdhsa_wavefront_size32 1
		.amdhsa_uses_dynamic_stack 0
		.amdhsa_enable_private_segment 0
		.amdhsa_system_sgpr_workgroup_id_x 1
		.amdhsa_system_sgpr_workgroup_id_y 0
		.amdhsa_system_sgpr_workgroup_id_z 0
		.amdhsa_system_sgpr_workgroup_info 0
		.amdhsa_system_vgpr_workitem_id 0
		.amdhsa_next_free_vgpr 173
		.amdhsa_next_free_sgpr 32
		.amdhsa_reserve_vcc 1
		.amdhsa_float_round_mode_32 0
		.amdhsa_float_round_mode_16_64 0
		.amdhsa_float_denorm_mode_32 3
		.amdhsa_float_denorm_mode_16_64 3
		.amdhsa_fp16_overflow 0
		.amdhsa_workgroup_processor_mode 1
		.amdhsa_memory_ordered 1
		.amdhsa_forward_progress 0
		.amdhsa_round_robin_scheduling 0
		.amdhsa_exception_fp_ieee_invalid_op 0
		.amdhsa_exception_fp_denorm_src 0
		.amdhsa_exception_fp_ieee_div_zero 0
		.amdhsa_exception_fp_ieee_overflow 0
		.amdhsa_exception_fp_ieee_underflow 0
		.amdhsa_exception_fp_ieee_inexact 0
		.amdhsa_exception_int_div_zero 0
	.end_amdhsa_kernel
	.text
.Lfunc_end0:
	.size	fft_rtc_fwd_len884_factors_13_4_17_wgs_204_tpt_68_halfLds_sp_ip_CI_unitstride_sbrr_R2C_dirReg, .Lfunc_end0-fft_rtc_fwd_len884_factors_13_4_17_wgs_204_tpt_68_halfLds_sp_ip_CI_unitstride_sbrr_R2C_dirReg
                                        ; -- End function
	.section	.AMDGPU.csdata,"",@progbits
; Kernel info:
; codeLenInByte = 14116
; NumSgprs: 34
; NumVgprs: 173
; ScratchSize: 0
; MemoryBound: 0
; FloatMode: 240
; IeeeMode: 1
; LDSByteSize: 0 bytes/workgroup (compile time only)
; SGPRBlocks: 4
; VGPRBlocks: 21
; NumSGPRsForWavesPerEU: 34
; NumVGPRsForWavesPerEU: 173
; Occupancy: 8
; WaveLimiterHint : 1
; COMPUTE_PGM_RSRC2:SCRATCH_EN: 0
; COMPUTE_PGM_RSRC2:USER_SGPR: 2
; COMPUTE_PGM_RSRC2:TRAP_HANDLER: 0
; COMPUTE_PGM_RSRC2:TGID_X_EN: 1
; COMPUTE_PGM_RSRC2:TGID_Y_EN: 0
; COMPUTE_PGM_RSRC2:TGID_Z_EN: 0
; COMPUTE_PGM_RSRC2:TIDIG_COMP_CNT: 0
	.text
	.p2alignl 7, 3214868480
	.fill 96, 4, 3214868480
	.type	__hip_cuid_32a8856744d4aa43,@object ; @__hip_cuid_32a8856744d4aa43
	.section	.bss,"aw",@nobits
	.globl	__hip_cuid_32a8856744d4aa43
__hip_cuid_32a8856744d4aa43:
	.byte	0                               ; 0x0
	.size	__hip_cuid_32a8856744d4aa43, 1

	.ident	"AMD clang version 19.0.0git (https://github.com/RadeonOpenCompute/llvm-project roc-6.4.0 25133 c7fe45cf4b819c5991fe208aaa96edf142730f1d)"
	.section	".note.GNU-stack","",@progbits
	.addrsig
	.addrsig_sym __hip_cuid_32a8856744d4aa43
	.amdgpu_metadata
---
amdhsa.kernels:
  - .args:
      - .actual_access:  read_only
        .address_space:  global
        .offset:         0
        .size:           8
        .value_kind:     global_buffer
      - .offset:         8
        .size:           8
        .value_kind:     by_value
      - .actual_access:  read_only
        .address_space:  global
        .offset:         16
        .size:           8
        .value_kind:     global_buffer
      - .actual_access:  read_only
        .address_space:  global
        .offset:         24
        .size:           8
        .value_kind:     global_buffer
      - .offset:         32
        .size:           8
        .value_kind:     by_value
      - .actual_access:  read_only
        .address_space:  global
        .offset:         40
        .size:           8
        .value_kind:     global_buffer
      - .actual_access:  read_only
        .address_space:  global
        .offset:         48
        .size:           8
        .value_kind:     global_buffer
      - .offset:         56
        .size:           4
        .value_kind:     by_value
      - .actual_access:  read_only
        .address_space:  global
        .offset:         64
        .size:           8
        .value_kind:     global_buffer
      - .actual_access:  read_only
        .address_space:  global
        .offset:         72
        .size:           8
        .value_kind:     global_buffer
      - .address_space:  global
        .offset:         80
        .size:           8
        .value_kind:     global_buffer
    .group_segment_fixed_size: 0
    .kernarg_segment_align: 8
    .kernarg_segment_size: 88
    .language:       OpenCL C
    .language_version:
      - 2
      - 0
    .max_flat_workgroup_size: 204
    .name:           fft_rtc_fwd_len884_factors_13_4_17_wgs_204_tpt_68_halfLds_sp_ip_CI_unitstride_sbrr_R2C_dirReg
    .private_segment_fixed_size: 0
    .sgpr_count:     34
    .sgpr_spill_count: 0
    .symbol:         fft_rtc_fwd_len884_factors_13_4_17_wgs_204_tpt_68_halfLds_sp_ip_CI_unitstride_sbrr_R2C_dirReg.kd
    .uniform_work_group_size: 1
    .uses_dynamic_stack: false
    .vgpr_count:     173
    .vgpr_spill_count: 0
    .wavefront_size: 32
    .workgroup_processor_mode: 1
amdhsa.target:   amdgcn-amd-amdhsa--gfx1201
amdhsa.version:
  - 1
  - 2
...

	.end_amdgpu_metadata
